;; amdgpu-corpus repo=ROCm/rocFFT kind=compiled arch=gfx1201 opt=O3
	.text
	.amdgcn_target "amdgcn-amd-amdhsa--gfx1201"
	.amdhsa_code_object_version 6
	.protected	fft_rtc_fwd_len169_factors_13_13_wgs_156_tpt_13_half_op_CI_CI_sbcc_twdbase6_3step ; -- Begin function fft_rtc_fwd_len169_factors_13_13_wgs_156_tpt_13_half_op_CI_CI_sbcc_twdbase6_3step
	.globl	fft_rtc_fwd_len169_factors_13_13_wgs_156_tpt_13_half_op_CI_CI_sbcc_twdbase6_3step
	.p2align	8
	.type	fft_rtc_fwd_len169_factors_13_13_wgs_156_tpt_13_half_op_CI_CI_sbcc_twdbase6_3step,@function
fft_rtc_fwd_len169_factors_13_13_wgs_156_tpt_13_half_op_CI_CI_sbcc_twdbase6_3step: ; @fft_rtc_fwd_len169_factors_13_13_wgs_156_tpt_13_half_op_CI_CI_sbcc_twdbase6_3step
; %bb.0:
	s_clause 0x2
	s_load_b64 s[22:23], s[0:1], 0x0
	s_load_b256 s[4:11], s[0:1], 0x8
	s_load_b64 s[26:27], s[0:1], 0x28
	s_mov_b32 s3, exec_lo
	v_cmpx_gt_u32_e32 0xc0, v0
	s_cbranch_execz .LBB0_3
; %bb.1:
	v_lshlrev_b32_e32 v5, 2, v0
	v_add_co_u32 v1, s2, 0xffffff64, v0
	s_delay_alu instid0(VALU_DEP_1) | instskip(SKIP_1) | instid1(VALU_DEP_3)
	v_add_co_ci_u32_e64 v2, null, 0, -1, s2
	s_wait_kmcnt 0x0
	v_add_co_u32 v3, s2, s4, v5
	s_wait_alu 0xf1ff
	v_add_co_ci_u32_e64 v4, null, s5, 0, s2
	v_add3_u32 v5, v5, 0, 0x1fb0
	s_mov_b32 s4, 0
.LBB0_2:                                ; =>This Inner Loop Header: Depth=1
	global_load_b32 v6, v[3:4], off
	v_add_co_u32 v1, vcc_lo, 0x9c, v1
	s_wait_alu 0xfffd
	v_add_co_ci_u32_e32 v2, vcc_lo, 0, v2, vcc_lo
	v_add_co_u32 v3, vcc_lo, 0x270, v3
	s_wait_alu 0xfffd
	v_add_co_ci_u32_e32 v4, vcc_lo, 0, v4, vcc_lo
	s_delay_alu instid0(VALU_DEP_3) | instskip(SKIP_1) | instid1(VALU_DEP_1)
	v_cmp_lt_u64_e64 s2, 35, v[1:2]
	s_wait_alu 0xfffe
	s_or_b32 s4, s2, s4
	s_wait_loadcnt 0x0
	ds_store_b32 v5, v6
	v_add_nc_u32_e32 v5, 0x270, v5
	s_wait_alu 0xfffe
	s_and_not1_b32 exec_lo, exec_lo, s4
	s_cbranch_execnz .LBB0_2
.LBB0_3:
	s_or_b32 exec_lo, exec_lo, s3
	s_mov_b32 s31, 0
	s_load_b128 s[12:15], s[0:1], 0x60
	s_mov_b32 s0, 0x55540000
	s_movk_i32 s1, 0x55
	s_mov_b32 s30, s31
	s_wait_kmcnt 0x0
	s_load_b64 s[28:29], s[8:9], 0x8
	s_add_nc_u64 s[0:1], s[30:31], s[0:1]
	s_mov_b64 s[20:21], 0
	s_add_co_i32 s1, s1, 0x15555500
	s_delay_alu instid0(SALU_CYCLE_1)
	s_mul_u64 s[2:3], s[0:1], -12
	s_wait_alu 0xfffe
	s_mul_hi_u32 s5, s0, s3
	s_mul_i32 s4, s0, s3
	s_mul_hi_u32 s30, s0, s2
	s_mul_hi_u32 s16, s1, s2
	s_mul_i32 s2, s1, s2
	s_wait_alu 0xfffe
	s_add_nc_u64 s[4:5], s[30:31], s[4:5]
	s_mul_hi_u32 s17, s1, s3
	s_wait_alu 0xfffe
	s_add_co_u32 s2, s4, s2
	s_add_co_ci_u32 s30, s5, s16
	s_add_co_ci_u32 s5, s17, 0
	s_mul_i32 s4, s1, s3
	s_wait_alu 0xfffe
	s_add_nc_u64 s[2:3], s[30:31], s[4:5]
	s_wait_kmcnt 0x0
	s_add_nc_u64 s[4:5], s[28:29], -1
	s_wait_alu 0xfffe
	v_add_co_u32 v1, s0, s0, s2
	s_delay_alu instid0(VALU_DEP_1) | instskip(SKIP_1) | instid1(VALU_DEP_1)
	s_cmp_lg_u32 s0, 0
	s_add_co_ci_u32 s2, s1, s3
	v_readfirstlane_b32 s3, v1
	s_wait_alu 0xfffe
	s_mul_hi_u32 s1, s4, s2
	s_mul_i32 s0, s4, s2
	s_mul_hi_u32 s16, s5, s2
	s_mul_i32 s2, s5, s2
	s_mul_hi_u32 s30, s4, s3
	s_mul_i32 s17, s5, s3
	s_wait_alu 0xfffe
	s_add_nc_u64 s[0:1], s[30:31], s[0:1]
	s_mul_hi_u32 s3, s5, s3
	s_wait_alu 0xfffe
	s_add_co_u32 s0, s0, s17
	s_add_co_ci_u32 s30, s1, s3
	s_add_co_ci_u32 s3, s16, 0
	s_wait_alu 0xfffe
	s_add_nc_u64 s[0:1], s[30:31], s[2:3]
	s_wait_alu 0xfffe
	s_mov_b32 s30, ttmp9
	s_mul_u64 s[2:3], s[0:1], 12
	s_wait_alu 0xfffe
	v_sub_co_u32 v1, s2, s4, s2
	s_delay_alu instid0(VALU_DEP_1) | instskip(SKIP_1) | instid1(VALU_DEP_1)
	s_cmp_lg_u32 s2, 0
	s_sub_co_ci_u32 s16, s5, s3
	v_sub_co_u32 v2, s4, v1, 12
	s_delay_alu instid0(VALU_DEP_1) | instskip(SKIP_2) | instid1(VALU_DEP_2)
	s_cmp_lg_u32 s4, 0
	v_readfirstlane_b32 s18, v1
	s_sub_co_ci_u32 s4, s16, 0
	v_readfirstlane_b32 s2, v2
	s_delay_alu instid0(VALU_DEP_1)
	s_cmp_gt_u32 s2, 11
	s_add_nc_u64 s[2:3], s[0:1], 1
	s_cselect_b32 s17, -1, 0
	s_wait_alu 0xfffe
	s_cmp_eq_u32 s4, 0
	s_add_nc_u64 s[4:5], s[0:1], 2
	s_cselect_b32 s17, s17, -1
	s_delay_alu instid0(SALU_CYCLE_1)
	s_cmp_lg_u32 s17, 0
	s_wait_alu 0xfffe
	s_cselect_b32 s2, s4, s2
	s_cselect_b32 s3, s5, s3
	s_cmp_gt_u32 s18, 11
	s_cselect_b32 s4, -1, 0
	s_cmp_eq_u32 s16, 0
	s_wait_alu 0xfffe
	s_cselect_b32 s4, s4, -1
	s_wait_alu 0xfffe
	s_cmp_lg_u32 s4, 0
	s_cselect_b32 s1, s3, s1
	s_cselect_b32 s0, s2, s0
	s_wait_alu 0xfffe
	s_add_nc_u64 s[36:37], s[0:1], 1
	s_delay_alu instid0(SALU_CYCLE_1) | instskip(NEXT) | instid1(VALU_DEP_1)
	v_cmp_lt_u64_e64 s0, s[30:31], s[36:37]
	s_and_b32 vcc_lo, exec_lo, s0
	s_wait_alu 0xfffe
	s_cbranch_vccnz .LBB0_5
; %bb.4:
	v_cvt_f32_u32_e32 v1, s36
	s_sub_co_i32 s1, 0, s36
	s_mov_b32 s21, s31
	s_delay_alu instid0(VALU_DEP_1) | instskip(NEXT) | instid1(TRANS32_DEP_1)
	v_rcp_iflag_f32_e32 v1, v1
	v_mul_f32_e32 v1, 0x4f7ffffe, v1
	s_delay_alu instid0(VALU_DEP_1) | instskip(NEXT) | instid1(VALU_DEP_1)
	v_cvt_u32_f32_e32 v1, v1
	v_readfirstlane_b32 s0, v1
	s_wait_alu 0xfffe
	s_delay_alu instid0(VALU_DEP_1)
	s_mul_i32 s1, s1, s0
	s_wait_alu 0xfffe
	s_mul_hi_u32 s1, s0, s1
	s_wait_alu 0xfffe
	s_add_co_i32 s0, s0, s1
	s_wait_alu 0xfffe
	s_mul_hi_u32 s0, s30, s0
	s_wait_alu 0xfffe
	s_mul_i32 s1, s0, s36
	s_add_co_i32 s2, s0, 1
	s_wait_alu 0xfffe
	s_sub_co_i32 s1, s30, s1
	s_wait_alu 0xfffe
	s_sub_co_i32 s3, s1, s36
	s_cmp_ge_u32 s1, s36
	s_cselect_b32 s0, s2, s0
	s_wait_alu 0xfffe
	s_cselect_b32 s1, s3, s1
	s_add_co_i32 s2, s0, 1
	s_wait_alu 0xfffe
	s_cmp_ge_u32 s1, s36
	s_cselect_b32 s20, s2, s0
.LBB0_5:
	s_load_b128 s[16:19], s[10:11], 0x0
	s_load_b128 s[0:3], s[26:27], 0x0
	v_cmp_lt_u64_e64 s33, s[6:7], 3
	s_mul_u64 s[4:5], s[20:21], s[36:37]
	s_wait_alu 0xfffe
	s_sub_nc_u64 s[4:5], s[30:31], s[4:5]
	s_wait_alu 0xfffe
	s_mul_u64 s[24:25], s[4:5], 12
	s_and_b32 vcc_lo, exec_lo, s33
	s_wait_kmcnt 0x0
	s_mul_u64 s[34:35], s[18:19], s[24:25]
	s_mul_u64 s[4:5], s[2:3], s[24:25]
	s_wait_alu 0xfffe
	s_cbranch_vccnz .LBB0_15
; %bb.6:
	s_add_nc_u64 s[38:39], s[26:27], 16
	s_add_nc_u64 s[40:41], s[10:11], 16
	;; [unrolled: 1-line block ×3, first 2 shown]
	s_mov_b64 s[42:43], 2
	s_mov_b32 s44, 0
.LBB0_7:                                ; =>This Inner Loop Header: Depth=1
	s_load_b64 s[46:47], s[8:9], 0x0
                                        ; implicit-def: $sgpr50_sgpr51
	s_wait_kmcnt 0x0
	s_or_b64 s[48:49], s[20:21], s[46:47]
	s_delay_alu instid0(SALU_CYCLE_1)
	s_mov_b32 s45, s49
	s_mov_b32 s49, -1
	s_cmp_lg_u64 s[44:45], 0
	s_cbranch_scc0 .LBB0_9
; %bb.8:                                ;   in Loop: Header=BB0_7 Depth=1
	s_cvt_f32_u32 s33, s46
	s_cvt_f32_u32 s45, s47
	s_sub_nc_u64 s[52:53], 0, s[46:47]
	s_mov_b32 s49, 0
	s_mov_b32 s57, s44
	s_wait_alu 0xfffe
	s_fmamk_f32 s33, s45, 0x4f800000, s33
	s_wait_alu 0xfffe
	s_delay_alu instid0(SALU_CYCLE_2) | instskip(NEXT) | instid1(TRANS32_DEP_1)
	v_s_rcp_f32 s33, s33
	s_mul_f32 s33, s33, 0x5f7ffffc
	s_wait_alu 0xfffe
	s_delay_alu instid0(SALU_CYCLE_2) | instskip(NEXT) | instid1(SALU_CYCLE_3)
	s_mul_f32 s45, s33, 0x2f800000
	s_trunc_f32 s45, s45
	s_delay_alu instid0(SALU_CYCLE_3) | instskip(SKIP_2) | instid1(SALU_CYCLE_1)
	s_fmamk_f32 s33, s45, 0xcf800000, s33
	s_cvt_u32_f32 s51, s45
	s_wait_alu 0xfffe
	s_cvt_u32_f32 s50, s33
	s_wait_alu 0xfffe
	s_delay_alu instid0(SALU_CYCLE_2)
	s_mul_u64 s[54:55], s[52:53], s[50:51]
	s_wait_alu 0xfffe
	s_mul_hi_u32 s59, s50, s55
	s_mul_i32 s58, s50, s55
	s_mul_hi_u32 s48, s50, s54
	s_mul_i32 s45, s51, s54
	s_add_nc_u64 s[58:59], s[48:49], s[58:59]
	s_mul_hi_u32 s33, s51, s54
	s_mul_hi_u32 s60, s51, s55
	s_add_co_u32 s45, s58, s45
	s_wait_alu 0xfffe
	s_add_co_ci_u32 s56, s59, s33
	s_mul_i32 s54, s51, s55
	s_add_co_ci_u32 s55, s60, 0
	s_wait_alu 0xfffe
	s_add_nc_u64 s[54:55], s[56:57], s[54:55]
	s_wait_alu 0xfffe
	v_add_co_u32 v1, s33, s50, s54
	s_delay_alu instid0(VALU_DEP_1) | instskip(SKIP_1) | instid1(VALU_DEP_1)
	s_cmp_lg_u32 s33, 0
	s_add_co_ci_u32 s51, s51, s55
	v_readfirstlane_b32 s50, v1
	s_mov_b32 s55, s44
	s_wait_alu 0xfffe
	s_delay_alu instid0(VALU_DEP_1)
	s_mul_u64 s[52:53], s[52:53], s[50:51]
	s_wait_alu 0xfffe
	s_mul_hi_u32 s57, s50, s53
	s_mul_i32 s56, s50, s53
	s_mul_hi_u32 s48, s50, s52
	s_mul_i32 s45, s51, s52
	s_add_nc_u64 s[56:57], s[48:49], s[56:57]
	s_mul_hi_u32 s33, s51, s52
	s_mul_hi_u32 s50, s51, s53
	s_add_co_u32 s45, s56, s45
	s_wait_alu 0xfffe
	s_add_co_ci_u32 s54, s57, s33
	s_mul_i32 s52, s51, s53
	s_add_co_ci_u32 s53, s50, 0
	s_wait_alu 0xfffe
	s_add_nc_u64 s[52:53], s[54:55], s[52:53]
	s_wait_alu 0xfffe
	v_add_co_u32 v1, s33, v1, s52
	s_delay_alu instid0(VALU_DEP_1) | instskip(SKIP_1) | instid1(VALU_DEP_1)
	s_cmp_lg_u32 s33, 0
	s_add_co_ci_u32 s33, s51, s53
	v_readfirstlane_b32 s45, v1
	s_wait_alu 0xfffe
	s_mul_hi_u32 s51, s20, s33
	s_mul_i32 s50, s20, s33
	s_mul_hi_u32 s53, s21, s33
	s_mul_i32 s52, s21, s33
	s_mul_hi_u32 s48, s20, s45
	s_mul_i32 s33, s21, s45
	s_wait_alu 0xfffe
	s_add_nc_u64 s[50:51], s[48:49], s[50:51]
	s_mul_hi_u32 s45, s21, s45
	s_wait_alu 0xfffe
	s_add_co_u32 s33, s50, s33
	s_add_co_ci_u32 s54, s51, s45
	s_add_co_ci_u32 s53, s53, 0
	s_wait_alu 0xfffe
	s_add_nc_u64 s[50:51], s[54:55], s[52:53]
	s_wait_alu 0xfffe
	s_mul_u64 s[52:53], s[46:47], s[50:51]
	s_add_nc_u64 s[54:55], s[50:51], 1
	s_wait_alu 0xfffe
	v_sub_co_u32 v1, s33, s20, s52
	s_sub_co_i32 s45, s21, s53
	s_cmp_lg_u32 s33, 0
	s_add_nc_u64 s[56:57], s[50:51], 2
	s_delay_alu instid0(VALU_DEP_1) | instskip(SKIP_2) | instid1(VALU_DEP_1)
	v_sub_co_u32 v2, s48, v1, s46
	s_sub_co_ci_u32 s45, s45, s47
	s_cmp_lg_u32 s48, 0
	v_readfirstlane_b32 s48, v2
	s_sub_co_ci_u32 s45, s45, 0
	s_delay_alu instid0(SALU_CYCLE_1) | instskip(SKIP_1) | instid1(VALU_DEP_1)
	s_cmp_ge_u32 s45, s47
	s_cselect_b32 s52, -1, 0
	s_cmp_ge_u32 s48, s46
	s_cselect_b32 s48, -1, 0
	s_cmp_eq_u32 s45, s47
	s_wait_alu 0xfffe
	s_cselect_b32 s45, s48, s52
	s_delay_alu instid0(SALU_CYCLE_1)
	s_cmp_lg_u32 s45, 0
	s_cselect_b32 s45, s56, s54
	s_cselect_b32 s48, s57, s55
	s_cmp_lg_u32 s33, 0
	v_readfirstlane_b32 s33, v1
	s_sub_co_ci_u32 s52, s21, s53
	s_wait_alu 0xfffe
	s_cmp_ge_u32 s52, s47
	s_cselect_b32 s53, -1, 0
	s_cmp_ge_u32 s33, s46
	s_cselect_b32 s33, -1, 0
	s_cmp_eq_u32 s52, s47
	s_wait_alu 0xfffe
	s_cselect_b32 s33, s33, s53
	s_wait_alu 0xfffe
	s_cmp_lg_u32 s33, 0
	s_cselect_b32 s51, s48, s51
	s_cselect_b32 s50, s45, s50
.LBB0_9:                                ;   in Loop: Header=BB0_7 Depth=1
	s_and_not1_b32 vcc_lo, exec_lo, s49
	s_wait_alu 0xfffe
	s_cbranch_vccnz .LBB0_11
; %bb.10:                               ;   in Loop: Header=BB0_7 Depth=1
	v_cvt_f32_u32_e32 v1, s46
	s_sub_co_i32 s45, 0, s46
	s_mov_b32 s51, s44
	s_delay_alu instid0(VALU_DEP_1) | instskip(NEXT) | instid1(TRANS32_DEP_1)
	v_rcp_iflag_f32_e32 v1, v1
	v_mul_f32_e32 v1, 0x4f7ffffe, v1
	s_delay_alu instid0(VALU_DEP_1) | instskip(NEXT) | instid1(VALU_DEP_1)
	v_cvt_u32_f32_e32 v1, v1
	v_readfirstlane_b32 s33, v1
	s_delay_alu instid0(VALU_DEP_1) | instskip(NEXT) | instid1(SALU_CYCLE_1)
	s_mul_i32 s45, s45, s33
	s_mul_hi_u32 s45, s33, s45
	s_delay_alu instid0(SALU_CYCLE_1)
	s_add_co_i32 s33, s33, s45
	s_wait_alu 0xfffe
	s_mul_hi_u32 s33, s20, s33
	s_wait_alu 0xfffe
	s_mul_i32 s45, s33, s46
	s_add_co_i32 s48, s33, 1
	s_sub_co_i32 s45, s20, s45
	s_delay_alu instid0(SALU_CYCLE_1)
	s_sub_co_i32 s49, s45, s46
	s_cmp_ge_u32 s45, s46
	s_cselect_b32 s33, s48, s33
	s_cselect_b32 s45, s49, s45
	s_wait_alu 0xfffe
	s_add_co_i32 s48, s33, 1
	s_cmp_ge_u32 s45, s46
	s_cselect_b32 s50, s48, s33
.LBB0_11:                               ;   in Loop: Header=BB0_7 Depth=1
	s_load_b64 s[48:49], s[40:41], 0x0
	s_load_b64 s[52:53], s[38:39], 0x0
	s_add_nc_u64 s[42:43], s[42:43], 1
	s_mul_u64 s[36:37], s[46:47], s[36:37]
	s_wait_alu 0xfffe
	v_cmp_ge_u64_e64 s33, s[42:43], s[6:7]
	s_mul_u64 s[46:47], s[50:51], s[46:47]
	s_add_nc_u64 s[38:39], s[38:39], 8
	s_wait_alu 0xfffe
	s_sub_nc_u64 s[20:21], s[20:21], s[46:47]
	s_add_nc_u64 s[40:41], s[40:41], 8
	s_add_nc_u64 s[8:9], s[8:9], 8
	s_and_b32 vcc_lo, exec_lo, s33
	s_wait_kmcnt 0x0
	s_wait_alu 0xfffe
	s_mul_u64 s[46:47], s[48:49], s[20:21]
	s_mul_u64 s[20:21], s[52:53], s[20:21]
	s_wait_alu 0xfffe
	s_add_nc_u64 s[34:35], s[46:47], s[34:35]
	s_add_nc_u64 s[4:5], s[20:21], s[4:5]
	s_cbranch_vccnz .LBB0_13
; %bb.12:                               ;   in Loop: Header=BB0_7 Depth=1
	s_mov_b64 s[20:21], s[50:51]
	s_branch .LBB0_7
.LBB0_13:
	v_cmp_lt_u64_e64 s8, s[30:31], s[36:37]
	s_mov_b64 s[20:21], 0
	s_delay_alu instid0(VALU_DEP_1)
	s_and_b32 vcc_lo, exec_lo, s8
	s_wait_alu 0xfffe
	s_cbranch_vccnz .LBB0_15
; %bb.14:
	v_cvt_f32_u32_e32 v1, s36
	s_sub_co_i32 s9, 0, s36
	s_delay_alu instid0(VALU_DEP_1) | instskip(NEXT) | instid1(TRANS32_DEP_1)
	v_rcp_iflag_f32_e32 v1, v1
	v_mul_f32_e32 v1, 0x4f7ffffe, v1
	s_delay_alu instid0(VALU_DEP_1) | instskip(NEXT) | instid1(VALU_DEP_1)
	v_cvt_u32_f32_e32 v1, v1
	v_readfirstlane_b32 s8, v1
	s_delay_alu instid0(VALU_DEP_1) | instskip(NEXT) | instid1(SALU_CYCLE_1)
	s_mul_i32 s9, s9, s8
	s_mul_hi_u32 s9, s8, s9
	s_delay_alu instid0(SALU_CYCLE_1) | instskip(NEXT) | instid1(SALU_CYCLE_1)
	s_add_co_i32 s8, s8, s9
	s_mul_hi_u32 s8, s30, s8
	s_delay_alu instid0(SALU_CYCLE_1) | instskip(SKIP_2) | instid1(SALU_CYCLE_1)
	s_mul_i32 s9, s8, s36
	s_add_co_i32 s20, s8, 1
	s_sub_co_i32 s9, s30, s9
	s_sub_co_i32 s21, s9, s36
	s_cmp_ge_u32 s9, s36
	s_wait_alu 0xfffe
	s_cselect_b32 s8, s20, s8
	s_cselect_b32 s9, s21, s9
	s_add_co_i32 s20, s8, 1
	s_cmp_ge_u32 s9, s36
	s_mov_b32 s21, 0
	s_wait_alu 0xfffe
	s_cselect_b32 s20, s20, s8
.LBB0_15:
	v_mul_hi_u32 v14, 0x15555556, v0
	s_lshl_b64 s[8:9], s[6:7], 3
	s_add_nc_u64 s[6:7], s[24:25], 12
	v_mov_b32_e32 v1, 0
	s_wait_alu 0xfffe
	v_cmp_le_u64_e64 s30, s[6:7], s[28:29]
	s_delay_alu instid0(VALU_DEP_3)
	v_lshlrev_b32_e32 v16, 2, v14
	v_mul_u32_u24_e32 v2, 12, v14
	v_add_nc_u32_e32 v13, 13, v14
	v_add_nc_u32_e32 v12, 26, v14
	;; [unrolled: 1-line block ×4, first 2 shown]
	v_sub_nc_u32_e32 v15, v0, v2
	v_add_nc_u32_e32 v8, 0x41, v14
	v_add_nc_u32_e32 v9, 0x4e, v14
	;; [unrolled: 1-line block ×4, first 2 shown]
	v_add_co_u32 v2, s6, s24, v15
	s_wait_alu 0xf1ff
	v_add_co_ci_u32_e64 v3, null, s25, 0, s6
	v_mul_lo_u32 v17, 0x2a4, v15
	v_add_nc_u32_e32 v5, 0x75, v14
	v_add_nc_u32_e32 v4, 0x82, v14
	s_delay_alu instid0(VALU_DEP_4) | instskip(SKIP_4) | instid1(SALU_CYCLE_1)
	v_cmp_gt_u64_e32 vcc_lo, s[28:29], v[2:3]
	v_add_nc_u32_e32 v3, 0x8f, v14
	v_add_nc_u32_e32 v2, 0x9c, v14
	s_add_nc_u64 s[6:7], s[26:27], s[8:9]
	s_or_b32 s26, s30, vcc_lo
	s_and_saveexec_b32 s27, s26
	s_cbranch_execz .LBB0_17
; %bb.16:
	v_mad_co_u64_u32 v[18:19], null, s18, v15, 0
	v_mad_co_u64_u32 v[20:21], null, s16, v14, 0
	s_add_nc_u64 s[8:9], s[10:11], s[8:9]
	v_mad_co_u64_u32 v[22:23], null, s16, v13, 0
	s_load_b64 s[8:9], s[8:9], 0x0
	s_lshl_b64 s[10:11], s[34:35], 2
	v_mad_co_u64_u32 v[27:28], null, s16, v11, 0
	s_delay_alu instid0(VALU_DEP_3) | instskip(SKIP_1) | instid1(VALU_DEP_4)
	v_mad_co_u64_u32 v[24:25], null, s19, v15, v[19:20]
	v_mad_co_u64_u32 v[25:26], null, s16, v12, 0
	;; [unrolled: 1-line block ×4, first 2 shown]
	s_delay_alu instid0(VALU_DEP_4) | instskip(SKIP_1) | instid1(VALU_DEP_4)
	v_mov_b32_e32 v19, v24
	v_mad_co_u64_u32 v[47:48], null, s16, v2, 0
	v_dual_mov_b32 v24, v26 :: v_dual_mov_b32 v21, v29
	s_delay_alu instid0(VALU_DEP_3) | instskip(NEXT) | instid1(VALU_DEP_2)
	v_lshlrev_b64_e32 v[18:19], 2, v[18:19]
	v_mad_co_u64_u32 v[30:31], null, s17, v13, v[23:24]
	s_wait_kmcnt 0x0
	s_mul_u64 s[8:9], s[8:9], s[20:21]
	s_delay_alu instid0(SALU_CYCLE_1) | instskip(NEXT) | instid1(SALU_CYCLE_1)
	s_lshl_b64 s[8:9], s[8:9], 2
	s_add_nc_u64 s[8:9], s[12:13], s[8:9]
	s_delay_alu instid0(SALU_CYCLE_1) | instskip(NEXT) | instid1(VALU_DEP_1)
	s_add_nc_u64 s[8:9], s[8:9], s[10:11]
	v_mov_b32_e32 v23, v30
	v_add_co_u32 v49, vcc_lo, s8, v18
	s_wait_alu 0xfffd
	v_add_co_ci_u32_e32 v50, vcc_lo, s9, v19, vcc_lo
	v_lshlrev_b64_e32 v[18:19], 2, v[20:21]
	v_mad_co_u64_u32 v[20:21], null, s17, v12, v[24:25]
	v_mad_co_u64_u32 v[29:30], null, s16, v10, 0
	v_lshlrev_b64_e32 v[22:23], 2, v[22:23]
	v_mov_b32_e32 v21, v28
	v_add_co_u32 v18, vcc_lo, v49, v18
	v_mov_b32_e32 v26, v20
	s_wait_alu 0xfffd
	v_add_co_ci_u32_e32 v19, vcc_lo, v50, v19, vcc_lo
	v_mad_co_u64_u32 v[20:21], null, s17, v11, v[21:22]
	v_mov_b32_e32 v21, v30
	v_add_co_u32 v22, vcc_lo, v49, v22
	v_lshlrev_b64_e32 v[24:25], 2, v[25:26]
	s_wait_alu 0xfffd
	v_add_co_ci_u32_e32 v23, vcc_lo, v50, v23, vcc_lo
	s_delay_alu instid0(VALU_DEP_3)
	v_mad_co_u64_u32 v[30:31], null, s17, v10, v[21:22]
	v_mad_co_u64_u32 v[31:32], null, s16, v8, 0
	v_mov_b32_e32 v28, v20
	v_add_co_u32 v20, vcc_lo, v49, v24
	s_wait_alu 0xfffd
	v_add_co_ci_u32_e32 v21, vcc_lo, v50, v25, vcc_lo
	s_delay_alu instid0(VALU_DEP_3) | instskip(SKIP_2) | instid1(VALU_DEP_3)
	v_lshlrev_b64_e32 v[24:25], 2, v[27:28]
	v_mad_co_u64_u32 v[27:28], null, s16, v9, 0
	v_mov_b32_e32 v26, v32
	v_add_co_u32 v24, vcc_lo, v49, v24
	s_wait_alu 0xfffd
	s_delay_alu instid0(VALU_DEP_4) | instskip(NEXT) | instid1(VALU_DEP_3)
	v_add_co_ci_u32_e32 v25, vcc_lo, v50, v25, vcc_lo
	v_mad_co_u64_u32 v[35:36], null, s17, v8, v[26:27]
	v_mov_b32_e32 v26, v28
	v_lshlrev_b64_e32 v[28:29], 2, v[29:30]
	v_mov_b32_e32 v30, v34
	s_delay_alu instid0(VALU_DEP_4) | instskip(NEXT) | instid1(VALU_DEP_4)
	v_mov_b32_e32 v32, v35
	v_mad_co_u64_u32 v[34:35], null, s17, v9, v[26:27]
	s_delay_alu instid0(VALU_DEP_3)
	v_mad_co_u64_u32 v[35:36], null, s17, v7, v[30:31]
	v_add_co_u32 v36, vcc_lo, v49, v28
	s_wait_alu 0xfffd
	v_add_co_ci_u32_e32 v37, vcc_lo, v50, v29, vcc_lo
	v_lshlrev_b64_e32 v[29:30], 2, v[31:32]
	v_mad_co_u64_u32 v[31:32], null, s16, v6, 0
	v_mov_b32_e32 v28, v34
	v_mov_b32_e32 v34, v35
	s_delay_alu instid0(VALU_DEP_4) | instskip(NEXT) | instid1(VALU_DEP_3)
	v_add_co_u32 v29, vcc_lo, v49, v29
	v_lshlrev_b64_e32 v[26:27], 2, v[27:28]
	v_mov_b32_e32 v28, v32
	s_delay_alu instid0(VALU_DEP_4)
	v_lshlrev_b64_e32 v[32:33], 2, v[33:34]
	v_mad_co_u64_u32 v[34:35], null, s16, v5, 0
	s_wait_alu 0xfffd
	v_add_co_ci_u32_e32 v30, vcc_lo, v50, v30, vcc_lo
	v_mad_co_u64_u32 v[38:39], null, s17, v6, v[28:29]
	v_mad_co_u64_u32 v[39:40], null, s16, v4, 0
	v_add_co_u32 v26, vcc_lo, v49, v26
	s_wait_alu 0xfffd
	v_add_co_ci_u32_e32 v27, vcc_lo, v50, v27, vcc_lo
	v_add_co_u32 v41, vcc_lo, v49, v32
	v_mov_b32_e32 v28, v35
	s_wait_alu 0xfffd
	v_add_co_ci_u32_e32 v42, vcc_lo, v50, v33, vcc_lo
	v_dual_mov_b32 v33, v40 :: v_dual_mov_b32 v32, v38
	s_delay_alu instid0(VALU_DEP_3) | instskip(NEXT) | instid1(VALU_DEP_2)
	v_mad_co_u64_u32 v[43:44], null, s17, v5, v[28:29]
	v_mad_co_u64_u32 v[44:45], null, s17, v4, v[33:34]
	;; [unrolled: 1-line block ×3, first 2 shown]
	s_clause 0x7
	global_load_b32 v33, v[18:19], off
	global_load_b32 v38, v[22:23], off
	global_load_b32 v51, v[20:21], off
	global_load_b32 v52, v[24:25], off
	global_load_b32 v36, v[36:37], off
	global_load_b32 v29, v[29:30], off
	global_load_b32 v30, v[26:27], off
	global_load_b32 v37, v[41:42], off
	v_mov_b32_e32 v35, v43
	v_lshlrev_b64_e32 v[19:20], 2, v[31:32]
	v_mov_b32_e32 v40, v44
	v_mov_b32_e32 v18, v46
	s_delay_alu instid0(VALU_DEP_1)
	v_mad_co_u64_u32 v[21:22], null, s17, v3, v[18:19]
	v_mov_b32_e32 v18, v48
	v_add_co_u32 v19, vcc_lo, v49, v19
	v_lshlrev_b64_e32 v[22:23], 2, v[34:35]
	s_wait_alu 0xfffd
	v_add_co_ci_u32_e32 v20, vcc_lo, v50, v20, vcc_lo
	s_delay_alu instid0(VALU_DEP_3)
	v_mad_co_u64_u32 v[24:25], null, s17, v2, v[18:19]
	v_lshlrev_b64_e32 v[25:26], 2, v[39:40]
	v_mov_b32_e32 v46, v21
	v_add_co_u32 v21, vcc_lo, v49, v22
	s_wait_alu 0xfffd
	v_add_co_ci_u32_e32 v22, vcc_lo, v50, v23, vcc_lo
	v_mov_b32_e32 v48, v24
	v_lshlrev_b64_e32 v[27:28], 2, v[45:46]
	v_add_co_u32 v23, vcc_lo, v49, v25
	s_wait_alu 0xfffd
	v_add_co_ci_u32_e32 v24, vcc_lo, v50, v26, vcc_lo
	v_lshlrev_b64_e32 v[25:26], 2, v[47:48]
	s_delay_alu instid0(VALU_DEP_4) | instskip(SKIP_2) | instid1(VALU_DEP_3)
	v_add_co_u32 v27, vcc_lo, v49, v27
	s_wait_alu 0xfffd
	v_add_co_ci_u32_e32 v28, vcc_lo, v50, v28, vcc_lo
	v_add_co_u32 v25, vcc_lo, v49, v25
	s_wait_alu 0xfffd
	v_add_co_ci_u32_e32 v26, vcc_lo, v50, v26, vcc_lo
	s_clause 0x4
	global_load_b32 v18, v[19:20], off
	global_load_b32 v19, v[21:22], off
	;; [unrolled: 1-line block ×5, first 2 shown]
	v_add3_u32 v23, 0, v17, v16
	s_wait_loadcnt 0xb
	ds_store_2addr_b32 v23, v33, v38 offset1:13
	s_wait_loadcnt 0x9
	ds_store_2addr_b32 v23, v51, v52 offset0:26 offset1:39
	s_wait_loadcnt 0x7
	ds_store_2addr_b32 v23, v36, v29 offset0:52 offset1:65
	;; [unrolled: 2-line block ×5, first 2 shown]
	s_wait_loadcnt 0x0
	ds_store_b32 v23, v22 offset:624
.LBB0_17:
	s_or_b32 exec_lo, exec_lo, s27
	s_mov_b32 s8, 0
	s_mov_b32 s10, 0x55540000
	s_movk_i32 s11, 0x55
	s_wait_alu 0xfffe
	s_mov_b32 s9, s8
	s_mov_b32 s19, s8
	s_wait_alu 0xfffe
	s_add_nc_u64 s[10:11], s[8:9], s[10:11]
	v_mul_hi_u32 v24, 0x13b13b14, v0
	s_add_co_i32 s11, s11, 0x15555500
	s_load_b64 s[6:7], s[6:7], 0x0
	s_mul_u64 s[12:13], s[10:11], -12
	global_wb scope:SCOPE_SE
	s_wait_dscnt 0x0
	s_mul_hi_u32 s17, s10, s13
	s_mul_i32 s16, s10, s13
	s_mul_hi_u32 s18, s10, s12
	s_mul_hi_u32 s9, s11, s12
	s_mul_i32 s12, s11, s12
	s_wait_alu 0xfffe
	s_add_nc_u64 s[16:17], s[18:19], s[16:17]
	s_mul_hi_u32 s18, s11, s13
	s_wait_alu 0xfffe
	s_add_co_u32 s12, s16, s12
	s_add_co_ci_u32 s12, s17, s9
	s_add_co_ci_u32 s17, s18, 0
	s_mul_i32 s16, s11, s13
	s_mov_b32 s13, s8
	s_wait_kmcnt 0x0
	s_barrier_signal -1
	s_wait_alu 0xfffe
	s_add_nc_u64 s[8:9], s[12:13], s[16:17]
	s_barrier_wait -1
	s_wait_alu 0xfffe
	v_add_co_u32 v18, s8, s10, s8
	s_delay_alu instid0(VALU_DEP_1) | instskip(SKIP_4) | instid1(VALU_DEP_2)
	s_cmp_lg_u32 s8, 0
	v_add_co_u32 v19, s8, s24, v24
	s_wait_alu 0xf1ff
	v_add_co_ci_u32_e64 v25, null, s25, 0, s8
	s_add_co_ci_u32 s8, s11, s9
	v_mul_hi_u32 v26, v19, v18
	s_wait_alu 0xfffe
	v_mad_co_u64_u32 v[20:21], null, v19, s8, 0
	v_mad_co_u64_u32 v[22:23], null, v25, v18, 0
	global_inv scope:SCOPE_SE
	v_add_co_u32 v18, vcc_lo, v26, v20
	s_wait_alu 0xfffd
	v_add_co_ci_u32_e32 v26, vcc_lo, 0, v21, vcc_lo
	v_mad_co_u64_u32 v[20:21], null, v25, s8, 0
	s_delay_alu instid0(VALU_DEP_3) | instskip(SKIP_1) | instid1(VALU_DEP_3)
	v_add_co_u32 v18, vcc_lo, v18, v22
	s_wait_alu 0xfffd
	v_add_co_ci_u32_e32 v18, vcc_lo, v26, v23, vcc_lo
	s_add_co_i32 s8, 0, 0x1fb0
	s_wait_alu 0xfffd
	s_delay_alu instid0(VALU_DEP_3) | instskip(NEXT) | instid1(VALU_DEP_2)
	v_add_co_ci_u32_e32 v21, vcc_lo, 0, v21, vcc_lo
	v_add_co_u32 v18, vcc_lo, v18, v20
	s_wait_alu 0xfffd
	s_delay_alu instid0(VALU_DEP_2) | instskip(NEXT) | instid1(VALU_DEP_2)
	v_add_co_ci_u32_e32 v22, vcc_lo, 0, v21, vcc_lo
	v_mad_co_u64_u32 v[20:21], null, v18, 12, 0
	s_delay_alu instid0(VALU_DEP_1) | instskip(NEXT) | instid1(VALU_DEP_1)
	v_mov_b32_e32 v18, v21
	v_mad_co_u64_u32 v[21:22], null, v22, 12, v[18:19]
	s_delay_alu instid0(VALU_DEP_3) | instskip(SKIP_1) | instid1(VALU_DEP_2)
	v_sub_co_u32 v18, vcc_lo, v19, v20
	s_wait_alu 0xfffd
	v_sub_co_ci_u32_e32 v20, vcc_lo, v25, v21, vcc_lo
	s_delay_alu instid0(VALU_DEP_2) | instskip(SKIP_1) | instid1(VALU_DEP_2)
	v_sub_co_u32 v21, vcc_lo, v18, 12
	s_wait_alu 0xfffd
	v_subrev_co_ci_u32_e32 v22, vcc_lo, 0, v20, vcc_lo
	s_delay_alu instid0(VALU_DEP_2)
	v_cmp_lt_u32_e32 vcc_lo, 11, v21
	s_wait_alu 0xfffd
	v_cndmask_b32_e64 v23, 0, -1, vcc_lo
	v_cmp_lt_u32_e32 vcc_lo, 11, v18
	s_wait_alu 0xfffd
	v_cndmask_b32_e64 v25, 0, -1, vcc_lo
	v_cmp_eq_u32_e32 vcc_lo, 0, v22
	s_wait_alu 0xfffd
	v_cndmask_b32_e32 v22, -1, v23, vcc_lo
	v_cmp_eq_u32_e32 vcc_lo, 0, v20
	v_add_nc_u32_e32 v23, -12, v21
	s_wait_alu 0xfffd
	v_cndmask_b32_e32 v20, -1, v25, vcc_lo
	v_cmp_ne_u32_e32 vcc_lo, 0, v22
	s_wait_alu 0xfffd
	v_cndmask_b32_e32 v21, v21, v23, vcc_lo
	s_delay_alu instid0(VALU_DEP_3) | instskip(SKIP_2) | instid1(VALU_DEP_3)
	v_cmp_ne_u32_e32 vcc_lo, 0, v20
	v_mul_u32_u24_e32 v20, 13, v24
	s_wait_alu 0xfffd
	v_cndmask_b32_e32 v18, v18, v21, vcc_lo
	s_delay_alu instid0(VALU_DEP_2) | instskip(NEXT) | instid1(VALU_DEP_2)
	v_sub_nc_u32_e32 v20, v0, v20
	v_mul_u32_u24_e32 v18, 0xa9, v18
	s_delay_alu instid0(VALU_DEP_2) | instskip(NEXT) | instid1(VALU_DEP_2)
	v_lshlrev_b32_e32 v21, 2, v20
	v_lshlrev_b32_e32 v0, 2, v18
	s_delay_alu instid0(VALU_DEP_1) | instskip(NEXT) | instid1(VALU_DEP_3)
	v_add_nc_u32_e32 v22, 0, v0
	v_add3_u32 v18, 0, v21, v0
	s_delay_alu instid0(VALU_DEP_2)
	v_add_nc_u32_e32 v21, v22, v21
	ds_load_2addr_b32 v[27:28], v18 offset0:143 offset1:156
	ds_load_2addr_b32 v[29:30], v18 offset0:13 offset1:26
	ds_load_b32 v0, v21
	ds_load_2addr_b32 v[31:32], v18 offset0:39 offset1:52
	ds_load_2addr_b32 v[33:34], v18 offset0:65 offset1:78
	;; [unrolled: 1-line block ×4, first 2 shown]
	v_mad_i32_i24 v22, v20, 52, v22
	global_wb scope:SCOPE_SE
	s_wait_dscnt 0x0
	s_barrier_signal -1
	s_barrier_wait -1
	global_inv scope:SCOPE_SE
	v_pk_add_f16 v23, v29, v28 neg_lo:[0,1] neg_hi:[0,1]
	v_pk_add_f16 v24, v28, v29
	v_pk_add_f16 v29, v0, v29
	;; [unrolled: 1-line block ×3, first 2 shown]
	v_pk_add_f16 v25, v30, v27 neg_lo:[0,1] neg_hi:[0,1]
	v_lshrrev_b32_e32 v39, 16, v23
	v_pk_mul_f16 v40, 0x3b15388b, v24
	v_pk_add_f16 v29, v29, v30
	v_lshrrev_b32_e32 v42, 16, v24
	v_mul_f16_e32 v43, 0xba95, v23
	v_mul_f16_e32 v44, 0xbbf1, v23
	;; [unrolled: 1-line block ×3, first 2 shown]
	v_pk_add_f16 v29, v29, v31
	v_lshrrev_b32_e32 v41, 16, v0
	v_mul_f16_e32 v46, 0xb94e, v23
	v_lshrrev_b32_e32 v47, 16, v25
	v_pk_mul_f16 v48, 0x388bb5ac, v26
	v_pk_add_f16 v29, v29, v32
	v_lshrrev_b32_e32 v49, 16, v26
	v_mul_f16_e32 v50, 0xbb7b, v25
	v_mul_f16_e32 v51, 0xb3a8, v25
	;; [unrolled: 1-line block ×3, first 2 shown]
	v_pk_add_f16 v29, v29, v33
	v_mul_f16_e32 v30, 0xb770, v39
	v_pk_fma_f16 v53, 0xba95b770, v23, v40 op_sel:[0,0,1] op_sel_hi:[1,1,0] neg_lo:[0,1,0] neg_hi:[0,1,0]
	v_pk_fma_f16 v40, 0xba95b770, v23, v40 op_sel:[0,0,1] op_sel_hi:[1,1,0]
	v_fmamk_f16 v54, v42, 0x388b, v43
	v_pk_add_f16 v29, v29, v34
	v_mul_f16_e32 v55, 0xbbf1, v39
	v_fmamk_f16 v56, v42, 0x2fb7, v44
	v_mul_f16_e32 v57, 0xbb7b, v39
	v_fmamk_f16 v58, v42, 0xb5ac, v45
	v_pk_add_f16 v29, v29, v35
	v_mul_f16_e32 v39, 0xb94e, v39
	v_fma_f16 v43, v42, 0x388b, -v43
	v_fma_f16 v44, v42, 0x2fb7, -v44
	;; [unrolled: 1-line block ×3, first 2 shown]
	v_pk_add_f16 v29, v29, v36
	v_fmamk_f16 v59, v42, 0xb9fd, v46
	v_fma_f16 v42, v42, 0xb9fd, -v46
	v_mul_f16_e32 v46, 0xba95, v47
	v_pk_fma_f16 v60, 0xbb7bba95, v25, v48 op_sel:[0,0,1] op_sel_hi:[1,1,0] neg_lo:[0,1,0] neg_hi:[0,1,0]
	v_pk_add_f16 v29, v29, v37
	v_pk_fma_f16 v48, 0xbb7bba95, v25, v48 op_sel:[0,0,1] op_sel_hi:[1,1,0]
	v_fmamk_f16 v61, v49, 0xb5ac, v50
	v_mul_f16_e32 v62, 0xb3a8, v47
	v_fmamk_f16 v63, v49, 0xbbc4, v51
	v_pk_add_f16 v29, v29, v38
	v_mul_f16_e32 v64, 0x394e, v47
	v_bfi_b32 v66, 0xffff, v40, v53
	v_add_f16_e32 v54, v41, v54
	v_pk_add_f16 v40, v0, v40 op_sel:[1,0] op_sel_hi:[0,1]
	v_pk_add_f16 v27, v29, v27
	v_add_f16_e32 v56, v41, v56
	v_add_f16_e32 v58, v41, v58
	v_fma_f16 v69, v24, 0xb9fd, -v39
	v_mul_f16_e32 v47, 0x3bf1, v47
	v_pk_add_f16 v27, v27, v28
	v_fmamk_f16 v28, v49, 0xb9fd, v52
	v_add_f16_e32 v45, v41, v45
	v_bfi_b32 v71, 0xffff, v48, v60
	v_add_f16_e32 v69, v0, v69
	v_add_f16_e32 v54, v61, v54
	v_pk_add_f16 v40, v48, v40
	v_add_f16_e32 v48, v63, v56
	v_add_f16_e32 v28, v28, v58
	v_fma_f16 v52, v49, 0xb9fd, -v52
	v_fma_f16 v56, v26, 0x2fb7, -v47
	v_mul_f16_e32 v58, 0x3bf1, v25
	v_pk_add_f16 v61, v31, v38 neg_lo:[0,1] neg_hi:[0,1]
	v_fma_f16 v65, v24, 0x3b15, -v30
	v_fmac_f16_e32 v30, 0x3b15, v24
	v_fma_f16 v67, v24, 0x2fb7, -v55
	v_fmac_f16_e32 v55, 0x2fb7, v24
	v_add_f16_e32 v59, v41, v59
	v_fmac_f16_e32 v39, 0xb9fd, v24
	v_add_f16_e32 v45, v52, v45
	v_add_f16_e32 v52, v56, v69
	v_pk_add_f16 v31, v38, v31
	v_fmamk_f16 v38, v49, 0x2fb7, v58
	v_lshrrev_b32_e32 v56, 16, v61
	v_fma_f16 v50, v49, 0xb5ac, -v50
	v_fma_f16 v51, v49, 0xbbc4, -v51
	v_add_f16_e32 v43, v41, v43
	v_fma_f16 v68, v24, 0xb5ac, -v57
	v_fmac_f16_e32 v57, 0xb5ac, v24
	v_add_f16_e32 v42, v41, v42
	v_fma_f16 v70, v26, 0x388b, -v46
	v_fmac_f16_e32 v46, 0x388b, v26
	v_fma_f16 v72, v26, 0xbbc4, -v62
	v_fmac_f16_e32 v62, 0xbbc4, v26
	v_add_f16_e32 v65, v0, v65
	v_add_f16_e32 v30, v0, v30
	;; [unrolled: 1-line block ×4, first 2 shown]
	v_fmac_f16_e32 v47, 0x2fb7, v26
	v_fma_f16 v49, v49, 0x2fb7, -v58
	v_pk_mul_f16 v58, 0x2fb7bbc4, v31
	v_add_f16_e32 v38, v38, v59
	v_mul_f16_e32 v59, 0xbbf1, v56
	v_fma_f16 v73, v26, 0xb9fd, -v64
	v_pk_add_f16 v66, v0, v66 op_sel:[1,0] op_sel_hi:[0,1]
	v_add_f16_e32 v57, v0, v57
	v_add_f16_e32 v43, v50, v43
	;; [unrolled: 1-line block ×5, first 2 shown]
	v_fmac_f16_e32 v64, 0xb9fd, v26
	v_add_f16_e32 v39, v47, v39
	v_add_f16_e32 v42, v49, v42
	v_pk_fma_f16 v47, 0xb3a8bbf1, v61, v58 op_sel:[0,0,1] op_sel_hi:[1,1,0] neg_lo:[0,1,0] neg_hi:[0,1,0]
	v_pk_fma_f16 v49, 0xb3a8bbf1, v61, v58 op_sel:[0,0,1] op_sel_hi:[1,1,0]
	v_fma_f16 v58, v31, 0x2fb7, -v59
	v_fmac_f16_e32 v59, 0x2fb7, v31
	v_lshrrev_b32_e32 v62, 16, v31
	v_mul_f16_e32 v63, 0xb3a8, v61
	v_pk_add_f16 v30, v71, v66
	v_add_f16_e32 v57, v64, v57
	v_bfi_b32 v64, 0xffff, v49, v47
	v_add_f16_e32 v50, v58, v50
	v_mul_f16_e32 v58, 0x3b7b, v56
	v_add_f16_e32 v29, v59, v29
	v_fmamk_f16 v59, v62, 0xbbc4, v63
	v_mul_f16_e32 v65, 0x3b7b, v61
	v_add_f16_e32 v44, v41, v44
	v_add_f16_e32 v68, v0, v68
	v_pk_add_f16 v30, v64, v30
	v_fma_f16 v63, v62, 0xbbc4, -v63
	v_fma_f16 v64, v31, 0xb5ac, -v58
	v_add_f16_e32 v54, v59, v54
	v_pk_add_f16 v40, v49, v40
	v_fmamk_f16 v49, v62, 0xb5ac, v65
	v_fmac_f16_e32 v58, 0xb5ac, v31
	v_mul_f16_e32 v59, 0x3770, v56
	v_add_f16_e32 v44, v51, v44
	v_add_f16_e32 v51, v73, v68
	;; [unrolled: 1-line block ×3, first 2 shown]
	v_mul_f16_e32 v63, 0x3770, v61
	v_add_f16_e32 v48, v49, v48
	v_add_f16_e32 v49, v58, v55
	v_fma_f16 v55, v31, 0x3b15, -v59
	v_fmac_f16_e32 v59, 0x3b15, v31
	v_fmamk_f16 v58, v62, 0x3b15, v63
	v_mul_f16_e32 v56, 0xba95, v56
	v_add_f16_e32 v67, v0, v67
	v_add_f16_e32 v51, v55, v51
	v_fma_f16 v55, v62, 0x3b15, -v63
	v_add_f16_e32 v57, v59, v57
	v_mul_f16_e32 v59, 0xba95, v61
	v_pk_add_f16 v63, v32, v37 neg_lo:[0,1] neg_hi:[0,1]
	v_add_f16_e32 v28, v58, v28
	v_fma_f16 v58, v31, 0x388b, -v56
	v_add_f16_e32 v45, v55, v45
	v_pk_add_f16 v32, v37, v32
	v_fmamk_f16 v37, v62, 0x388b, v59
	v_lshrrev_b32_e32 v55, 16, v63
	v_add_f16_e32 v46, v72, v67
	v_add_f16_e32 v52, v58, v52
	v_fmac_f16_e32 v56, 0x388b, v31
	v_fma_f16 v58, v62, 0x388b, -v59
	v_pk_mul_f16 v59, 0xb5acb9fd, v32
	v_add_f16_e32 v37, v37, v38
	v_mul_f16_e32 v38, 0xbb7b, v55
	v_add_f16_e32 v46, v64, v46
	v_fma_f16 v64, v62, 0xb5ac, -v65
	v_add_f16_e32 v39, v56, v39
	v_add_f16_e32 v42, v58, v42
	v_pk_fma_f16 v56, 0x394ebb7b, v63, v59 op_sel:[0,0,1] op_sel_hi:[1,1,0] neg_lo:[0,1,0] neg_hi:[0,1,0]
	v_pk_fma_f16 v58, 0x394ebb7b, v63, v59 op_sel:[0,0,1] op_sel_hi:[1,1,0]
	v_fma_f16 v59, v32, 0xb5ac, -v38
	v_add_f16_e32 v44, v64, v44
	v_lshrrev_b32_e32 v62, 16, v32
	v_mul_f16_e32 v64, 0x394e, v63
	v_fmac_f16_e32 v38, 0xb5ac, v32
	v_add_f16_e32 v50, v59, v50
	v_mul_f16_e32 v59, 0x3770, v55
	v_bfi_b32 v65, 0xffff, v58, v56
	v_fmamk_f16 v66, v62, 0xb9fd, v64
	v_add_f16_e32 v29, v38, v29
	v_fma_f16 v38, v62, 0xb9fd, -v64
	v_fma_f16 v64, v32, 0x3b15, -v59
	v_pk_add_f16 v40, v58, v40
	v_mul_f16_e32 v58, 0x3770, v63
	v_pk_add_f16 v30, v65, v30
	v_add_f16_e32 v38, v38, v43
	v_add_f16_e32 v43, v64, v46
	v_mul_f16_e32 v46, 0xbbf1, v55
	v_mul_f16_e32 v64, 0xbbf1, v63
	v_fmamk_f16 v65, v62, 0x3b15, v58
	v_fmac_f16_e32 v59, 0x3b15, v32
	v_fma_f16 v58, v62, 0x3b15, -v58
	v_add_f16_e32 v54, v66, v54
	v_fma_f16 v66, v32, 0x2fb7, -v46
	v_fmac_f16_e32 v46, 0x2fb7, v32
	v_add_f16_e32 v49, v59, v49
	v_add_f16_e32 v44, v58, v44
	v_fma_f16 v58, v62, 0x2fb7, -v64
	v_mul_f16_e32 v55, 0x33a8, v55
	v_pk_add_f16 v59, v33, v36 neg_lo:[0,1] neg_hi:[0,1]
	v_fmamk_f16 v67, v62, 0x2fb7, v64
	v_mul_f16_e32 v64, 0x33a8, v63
	v_add_f16_e32 v46, v46, v57
	v_add_f16_e32 v45, v58, v45
	v_fma_f16 v57, v32, 0xbbc4, -v55
	v_lshrrev_b32_e32 v58, 16, v59
	v_pk_add_f16 v33, v36, v33
	v_add_f16_e32 v48, v65, v48
	v_fmamk_f16 v65, v62, 0xbbc4, v64
	v_fmac_f16_e32 v55, 0xbbc4, v32
	v_add_f16_e32 v36, v57, v52
	v_mul_f16_e32 v52, 0xb94e, v58
	v_pk_mul_f16 v57, 0xb9fd2fb7, v33
	v_add_f16_e32 v51, v66, v51
	v_add_f16_e32 v37, v65, v37
	;; [unrolled: 1-line block ×3, first 2 shown]
	v_fma_f16 v55, v62, 0xbbc4, -v64
	v_fma_f16 v62, v33, 0xb9fd, -v52
	v_fmac_f16_e32 v52, 0xb9fd, v33
	v_pk_fma_f16 v64, 0x3bf1b94e, v59, v57 op_sel:[0,0,1] op_sel_hi:[1,1,0] neg_lo:[0,1,0] neg_hi:[0,1,0]
	v_pk_fma_f16 v57, 0x3bf1b94e, v59, v57 op_sel:[0,0,1] op_sel_hi:[1,1,0]
	v_lshrrev_b32_e32 v65, 16, v33
	v_mul_f16_e32 v66, 0x3bf1, v59
	v_add_f16_e32 v42, v55, v42
	v_add_f16_e32 v50, v62, v50
	v_add_f16_e32 v29, v52, v29
	v_bfi_b32 v52, 0xffff, v57, v64
	v_fmamk_f16 v55, v65, 0x2fb7, v66
	v_fma_f16 v62, v65, 0x2fb7, -v66
	v_mul_f16_e32 v66, 0xba95, v58
	v_add_f16_e32 v28, v67, v28
	v_pk_add_f16 v30, v52, v30
	v_add_f16_e32 v52, v55, v54
	v_add_f16_e32 v38, v62, v38
	v_fma_f16 v54, v33, 0x388b, -v66
	v_mul_f16_e32 v62, 0x33a8, v58
	v_mul_f16_e32 v67, 0xba95, v59
	;; [unrolled: 1-line block ×3, first 2 shown]
	v_fmac_f16_e32 v66, 0x388b, v33
	v_add_f16_e32 v43, v54, v43
	v_fma_f16 v54, v33, 0xbbc4, -v62
	v_fmac_f16_e32 v62, 0xbbc4, v33
	v_fmamk_f16 v55, v65, 0x388b, v67
	v_mul_f16_e32 v58, 0x3770, v58
	v_add_f16_e32 v41, v41, v53
	v_add_f16_e32 v49, v66, v49
	;; [unrolled: 1-line block ×3, first 2 shown]
	v_pk_add_f16 v62, v34, v35 neg_lo:[0,1] neg_hi:[0,1]
	v_add_f16_e32 v48, v55, v48
	v_fmamk_f16 v55, v65, 0xbbc4, v68
	v_fma_f16 v66, v65, 0x388b, -v67
	v_add_f16_e32 v51, v54, v51
	v_lshrrev_b32_e32 v53, 16, v62
	v_fma_f16 v54, v65, 0xbbc4, -v68
	v_add_f16_e32 v28, v55, v28
	v_fma_f16 v55, v33, 0x3b15, -v58
	v_mul_f16_e32 v67, 0x3770, v59
	v_pk_add_f16 v34, v35, v34
	v_add_f16_e32 v35, v60, v41
	v_mul_f16_e32 v41, 0xb3a8, v53
	v_add_f16_e32 v45, v54, v45
	v_add_f16_e32 v36, v55, v36
	v_fmamk_f16 v54, v65, 0x3b15, v67
	v_add_f16_e32 v35, v47, v35
	v_fma_f16 v47, v34, 0xbbc4, -v41
	v_fmac_f16_e32 v41, 0xbbc4, v34
	v_pk_mul_f16 v55, 0xbbc43b15, v34
	v_add_f16_e32 v37, v54, v37
	v_fma_f16 v54, v65, 0x3b15, -v67
	v_add_f16_e32 v35, v56, v35
	v_add_f16_e32 v47, v47, v50
	;; [unrolled: 1-line block ×3, first 2 shown]
	v_pk_fma_f16 v41, 0x3770b3a8, v62, v55 op_sel:[0,0,1] op_sel_hi:[1,1,0] neg_lo:[0,1,0] neg_hi:[0,1,0]
	v_pk_fma_f16 v50, 0x3770b3a8, v62, v55 op_sel:[0,0,1] op_sel_hi:[1,1,0]
	v_add_f16_e32 v42, v54, v42
	v_add_f16_e32 v35, v64, v35
	v_lshrrev_b32_e32 v54, 16, v34
	v_mul_f16_e32 v56, 0x3770, v62
	v_bfi_b32 v50, 0xffff, v50, v41
	v_mul_f16_e32 v60, 0xb94e, v53
	v_add_f16_e32 v35, v41, v35
	v_mul_f16_e32 v64, 0xb9fd, v54
	v_fmamk_f16 v41, v54, 0x3b15, v56
	v_fma_f16 v56, v54, 0x3b15, -v56
	v_pk_add_f16 v30, v50, v30
	v_fma_f16 v50, v34, 0xb9fd, -v60
	v_pk_mul_f16 v24, 0xbbc4, v24 op_sel_hi:[0,1]
	v_add_f16_e32 v41, v41, v52
	v_add_f16_e32 v38, v56, v38
	v_mul_f16_e32 v56, 0x3a95, v62
	v_add_f16_e32 v43, v50, v43
	v_fmamk_f16 v50, v62, 0xb94e, v64
	v_mul_f16_e32 v52, 0x3a95, v53
	v_fmac_f16_e32 v60, 0xb9fd, v34
	v_pk_mul_f16 v32, 0x388b, v32 op_sel_hi:[0,1]
	v_mul_f16_e32 v53, 0xbb7b, v53
	v_add_f16_e32 v48, v50, v48
	v_fmamk_f16 v50, v54, 0x388b, v56
	v_fma_f16 v65, v34, 0x388b, -v52
	v_add_f16_e32 v49, v60, v49
	v_mul_f16_e32 v60, 0xbb7b, v62
	v_fmac_f16_e32 v58, 0x3b15, v33
	v_add_f16_e32 v28, v50, v28
	v_fma_f16 v50, v54, 0x388b, -v56
	v_add_f16_e32 v51, v65, v51
	v_fma_f16 v56, v34, 0xb5ac, -v53
	v_fmamk_f16 v65, v54, 0xb5ac, v60
	v_mul_f16_e32 v67, 0xb94e, v62
	v_add_f16_e32 v45, v50, v45
	v_pk_fma_f16 v50, 0xb3a8, v23, v24 op_sel:[0,0,1] op_sel_hi:[0,1,0] neg_lo:[0,1,0] neg_hi:[0,1,0]
	v_pk_fma_f16 v23, 0xb3a8, v23, v24 op_sel:[0,0,1] op_sel_hi:[0,1,0]
	v_pk_mul_f16 v24, 0x3b15, v26 op_sel_hi:[0,1]
	v_add_f16_e32 v36, v56, v36
	v_add_f16_e32 v37, v65, v37
	v_pk_add_f16 v50, v0, v50 op_sel:[1,0] op_sel_hi:[0,1]
	v_pk_add_f16 v0, v0, v23 op_sel:[1,0] op_sel_hi:[0,1]
	v_pk_fma_f16 v23, 0x3770, v25, v24 op_sel:[0,0,1] op_sel_hi:[0,1,0] neg_lo:[0,1,0] neg_hi:[0,1,0]
	v_pk_fma_f16 v24, 0x3770, v25, v24 op_sel:[0,0,1] op_sel_hi:[0,1,0]
	v_pk_mul_f16 v25, 0xb9fd, v31 op_sel_hi:[0,1]
	v_pack_b32_f16 v36, v36, v37
	v_add_f16_e32 v39, v58, v39
	v_pk_add_f16 v23, v23, v50
	v_pk_add_f16 v0, v24, v0
	v_pk_fma_f16 v24, 0xb94e, v61, v25 op_sel:[0,0,1] op_sel_hi:[0,1,0] neg_lo:[0,1,0] neg_hi:[0,1,0]
	v_pk_fma_f16 v25, 0xb94e, v61, v25 op_sel:[0,0,1] op_sel_hi:[0,1,0]
	v_pk_mul_f16 v58, 0x3770b3a8, v62
	v_fmac_f16_e32 v53, 0xb5ac, v34
	ds_store_2addr_b32 v22, v27, v36 offset1:5
	v_pk_add_f16 v23, v24, v23
	v_pk_add_f16 v0, v25, v0
	v_pk_fma_f16 v24, 0x3a95, v63, v32 op_sel:[0,0,1] op_sel_hi:[0,1,0] neg_lo:[0,1,0] neg_hi:[0,1,0]
	v_pk_fma_f16 v25, 0x3a95, v63, v32 op_sel:[0,0,1] op_sel_hi:[0,1,0]
	v_pk_mul_f16 v32, 0xb5ac, v33 op_sel_hi:[0,1]
	v_pk_mul_f16 v33, 0x2fb7, v34 op_sel_hi:[0,1]
	v_fmac_f16_e32 v52, 0x388b, v34
	v_pk_add_f16 v23, v24, v23
	v_pk_add_f16 v0, v25, v0
	v_pk_fma_f16 v24, 0xbb7b, v59, v32 op_sel:[0,0,1] op_sel_hi:[0,1,0] neg_lo:[0,1,0] neg_hi:[0,1,0]
	v_pk_fma_f16 v25, 0xbb7b, v59, v32 op_sel:[0,0,1] op_sel_hi:[0,1,0]
	v_add_f16_e32 v31, v53, v39
	v_pack_b32_f16 v34, v66, v55
	v_bfi_b32 v39, 0xffff, v44, v58
	v_pk_add_f16 v23, v24, v23
	v_pk_add_f16 v0, v25, v0
	v_pk_fma_f16 v25, 0x3bf1, v62, v33 op_sel:[0,0,1] op_sel_hi:[0,1,0] neg_lo:[0,1,0] neg_hi:[0,1,0]
	v_pk_fma_f16 v33, 0x3bf1, v62, v33 op_sel:[0,0,1] op_sel_hi:[0,1,0]
	v_bfi_b32 v24, 0xffff, v67, v40
	v_pk_add_f16 v40, v57, v40
	v_fma_f16 v26, v54, 0xb5ac, -v60
	v_pk_add_f16 v23, v25, v23
	v_pk_add_f16 v0, v33, v0
	v_pk_add_f16 v24, v64, v24 neg_lo:[0,1] neg_hi:[0,1]
	v_pk_add_f16 v25, v34, v39
	v_add_f16_e32 v46, v52, v46
	v_add_f16_e32 v26, v26, v42
	v_alignbit_b32 v27, v23, v0, 16
	v_alignbit_b32 v23, v0, v23, 16
	v_mul_i32_i24_e32 v0, 12, v20
	v_bfi_b32 v24, 0xffff, v24, v40
	v_alignbit_b32 v32, v41, v30, 16
	v_pack_b32_f16 v30, v47, v30
	v_pack_b32_f16 v28, v51, v28
	v_lshlrev_b64_e32 v[0:1], 2, v[0:1]
	v_pk_add_f16 v24, v24, v25
	v_pack_b32_f16 v33, v43, v48
	v_pack_b32_f16 v25, v46, v45
	;; [unrolled: 1-line block ×4, first 2 shown]
	v_add_co_u32 v0, vcc_lo, s22, v0
	s_wait_alu 0xfffd
	v_add_co_ci_u32_e32 v1, vcc_lo, s23, v1, vcc_lo
	v_alignbit_b32 v31, v38, v24, 16
	v_pack_b32_f16 v24, v49, v24
	ds_store_2addr_b32 v22, v30, v32 offset0:1 offset1:2
	ds_store_2addr_b32 v22, v33, v28 offset0:3 offset1:4
	ds_store_2addr_b32 v22, v23, v27 offset0:6 offset1:7
	ds_store_2addr_b32 v22, v26, v25 offset0:8 offset1:9
	ds_store_2addr_b32 v22, v24, v31 offset0:10 offset1:11
	ds_store_b32 v22, v29 offset:48
	global_wb scope:SCOPE_SE
	s_wait_dscnt 0x0
	s_barrier_signal -1
	s_barrier_wait -1
	global_inv scope:SCOPE_SE
	s_clause 0x2
	global_load_b128 v[22:25], v[0:1], off
	global_load_b128 v[27:30], v[0:1], off offset:16
	global_load_b128 v[31:34], v[0:1], off offset:32
	ds_load_2addr_b32 v[0:1], v18 offset0:65 offset1:78
	ds_load_2addr_b32 v[35:36], v18 offset0:91 offset1:104
	;; [unrolled: 1-line block ×6, first 2 shown]
	ds_load_b32 v45, v21
	ds_load_u16 v21, v18 offset:210
	s_wait_dscnt 0x7
	v_lshrrev_b32_e32 v46, 16, v0
	v_lshrrev_b32_e32 v47, 16, v1
	s_wait_dscnt 0x6
	v_lshrrev_b32_e32 v48, 16, v35
	v_lshrrev_b32_e32 v49, 16, v36
	;; [unrolled: 3-line block ×4, first 2 shown]
	v_lshrrev_b32_e32 v51, 16, v38
	v_lshrrev_b32_e32 v53, 16, v40
	;; [unrolled: 1-line block ×3, first 2 shown]
	s_wait_loadcnt 0x2
	v_lshrrev_b32_e32 v56, 16, v22
	v_lshrrev_b32_e32 v59, 16, v25
	s_wait_loadcnt 0x1
	v_lshrrev_b32_e32 v60, 16, v27
	v_lshrrev_b32_e32 v57, 16, v23
	;; [unrolled: 1-line block ×3, first 2 shown]
	v_mul_f16_e32 v61, v56, v26
	v_mul_f16_e32 v56, v56, v41
	s_wait_dscnt 0x0
	v_mul_f16_e32 v64, v21, v59
	v_mul_f16_e32 v59, v59, v44
	;; [unrolled: 1-line block ×3, first 2 shown]
	v_fma_f16 v41, v22, v41, -v61
	v_fmac_f16_e32 v56, v22, v26
	v_fma_f16 v44, v25, v44, -v64
	v_fmac_f16_e32 v59, v21, v25
	v_mul_f16_e32 v21, v46, v60
	v_lshrrev_b32_e32 v22, 16, v28
	v_mul_f16_e32 v25, v0, v60
	v_mul_f16_e32 v57, v57, v42
	;; [unrolled: 1-line block ×3, first 2 shown]
	v_fma_f16 v26, v0, v27, -v21
	v_mul_f16_e32 v0, v47, v22
	v_fmac_f16_e32 v25, v46, v27
	v_lshrrev_b32_e32 v46, 16, v45
	v_mul_f16_e32 v58, v58, v43
	v_fma_f16 v42, v23, v42, -v62
	v_fmac_f16_e32 v57, v23, v54
	v_mul_f16_e32 v21, v1, v22
	v_fma_f16 v22, v1, v28, -v0
	v_add_f16_e32 v0, v41, v45
	v_add_f16_e32 v1, v56, v46
	v_fma_f16 v43, v24, v43, -v63
	v_fmac_f16_e32 v58, v24, v55
	v_lshrrev_b32_e32 v23, 16, v29
	v_add_f16_e32 v0, v0, v42
	v_add_f16_e32 v1, v1, v57
	v_lshrrev_b32_e32 v54, 16, v30
	v_fmac_f16_e32 v21, v47, v28
	v_mul_f16_e32 v24, v48, v23
	v_mul_f16_e32 v23, v35, v23
	v_add_f16_e32 v0, v0, v43
	v_add_f16_e32 v1, v1, v58
	v_mul_f16_e32 v28, v49, v54
	v_fma_f16 v24, v35, v29, -v24
	v_mul_f16_e32 v27, v36, v54
	v_fmac_f16_e32 v23, v48, v29
	s_wait_loadcnt 0x0
	v_lshrrev_b32_e32 v29, 16, v31
	v_add_f16_e32 v0, v0, v44
	v_add_f16_e32 v1, v1, v59
	v_fma_f16 v28, v36, v30, -v28
	v_fmac_f16_e32 v27, v49, v30
	v_lshrrev_b32_e32 v30, 16, v32
	v_mul_f16_e32 v36, v50, v29
	v_add_f16_e32 v0, v0, v26
	v_add_f16_e32 v1, v1, v25
	v_lshrrev_b32_e32 v47, 16, v34
	v_mul_f16_e32 v29, v37, v29
	v_fma_f16 v36, v37, v31, -v36
	v_mul_f16_e32 v37, v51, v30
	v_add_f16_e32 v0, v0, v22
	v_add_f16_e32 v1, v1, v21
	v_mul_f16_e32 v30, v38, v30
	v_fmac_f16_e32 v29, v50, v31
	v_fma_f16 v31, v38, v32, -v37
	v_add_f16_e32 v0, v0, v24
	v_add_f16_e32 v1, v1, v23
	v_fmac_f16_e32 v30, v51, v32
	v_mul_f16_e32 v32, v40, v47
	v_lshrrev_b32_e32 v35, 16, v33
	v_add_f16_e32 v0, v0, v28
	v_add_f16_e32 v1, v1, v27
	v_mul_f16_e32 v38, v53, v47
	v_fmac_f16_e32 v32, v53, v34
	v_mul_f16_e32 v37, v52, v35
	v_mul_f16_e32 v35, v39, v35
	v_add_f16_e32 v0, v0, v36
	v_add_f16_e32 v1, v1, v29
	v_fma_f16 v34, v40, v34, -v38
	v_sub_f16_e32 v38, v56, v32
	v_fma_f16 v37, v39, v33, -v37
	v_fmac_f16_e32 v35, v52, v33
	v_add_f16_e32 v0, v0, v31
	v_add_f16_e32 v1, v1, v30
	;; [unrolled: 1-line block ×3, first 2 shown]
	v_mul_f16_e32 v39, 0xb770, v38
	v_sub_f16_e32 v40, v41, v34
	v_add_f16_e32 v0, v0, v37
	v_add_f16_e32 v41, v1, v35
	;; [unrolled: 1-line block ×3, first 2 shown]
	v_fma_f16 v47, v33, 0x3b15, -v39
	v_mul_f16_e32 v49, 0xb770, v40
	v_sub_f16_e32 v68, v57, v35
	v_add_f16_e32 v1, v0, v34
	v_add_f16_e32 v0, v41, v32
	;; [unrolled: 1-line block ×3, first 2 shown]
	v_mul_f16_e32 v34, 0xba95, v38
	v_fmamk_f16 v41, v48, 0x3b15, v49
	v_fma_f16 v47, v48, 0x3b15, -v49
	v_mul_f16_e32 v49, 0xba95, v40
	v_mul_f16_e32 v52, 0xbbf1, v38
	;; [unrolled: 1-line block ×9, first 2 shown]
	v_add_f16_e32 v70, v42, v37
	v_mul_f16_e32 v71, 0xba95, v68
	v_fmac_f16_e32 v39, 0x3b15, v33
	v_fma_f16 v50, v33, 0x388b, -v34
	v_fmac_f16_e32 v34, 0x388b, v33
	v_fma_f16 v54, v33, 0x2fb7, -v52
	;; [unrolled: 2-line block ×5, first 2 shown]
	v_fmamk_f16 v69, v48, 0xbbc4, v40
	v_sub_f16_e32 v37, v42, v37
	v_fmac_f16_e32 v38, 0xbbc4, v33
	v_fma_f16 v33, v48, 0xbbc4, -v40
	v_fma_f16 v40, v70, 0x388b, -v71
	v_fmamk_f16 v51, v48, 0x388b, v49
	v_fma_f16 v49, v48, 0x388b, -v49
	v_fmamk_f16 v56, v48, 0x2fb7, v53
	;; [unrolled: 2-line block ×4, first 2 shown]
	v_fma_f16 v64, v48, 0xb9fd, -v64
	v_add_f16_e32 v35, v57, v35
	v_mul_f16_e32 v42, 0xba95, v37
	v_add_f16_e32 v32, v40, v32
	v_mul_f16_e32 v40, 0xbb7b, v68
	v_add_f16_e32 v41, v41, v46
	v_add_f16_e32 v39, v39, v45
	;; [unrolled: 1-line block ×23, first 2 shown]
	v_fmamk_f16 v45, v35, 0x388b, v42
	v_fma_f16 v42, v35, 0x388b, -v42
	v_mul_f16_e32 v46, 0xbb7b, v37
	v_fma_f16 v48, v70, 0xb5ac, -v40
	v_fmac_f16_e32 v40, 0xb5ac, v70
	v_add_f16_e32 v41, v45, v41
	v_add_f16_e32 v42, v42, v47
	v_fmamk_f16 v45, v35, 0xb5ac, v46
	v_add_f16_e32 v47, v48, v50
	v_mul_f16_e32 v48, 0xb3a8, v68
	v_fma_f16 v46, v35, 0xb5ac, -v46
	v_mul_f16_e32 v50, 0xb3a8, v37
	v_add_f16_e32 v45, v45, v51
	v_add_f16_e32 v34, v40, v34
	v_fma_f16 v51, v70, 0xbbc4, -v48
	v_add_f16_e32 v40, v46, v49
	v_mul_f16_e32 v46, 0x394e, v68
	v_fmamk_f16 v49, v35, 0xbbc4, v50
	v_fma_f16 v50, v35, 0xbbc4, -v50
	v_add_f16_e32 v51, v51, v54
	v_fmac_f16_e32 v48, 0xbbc4, v70
	v_fma_f16 v54, v70, 0xb9fd, -v46
	v_fmac_f16_e32 v46, 0xb9fd, v70
	v_add_f16_e32 v50, v50, v53
	v_mul_f16_e32 v53, 0x3bf1, v68
	v_add_f16_e32 v48, v48, v52
	v_add_f16_e32 v52, v54, v60
	v_mul_f16_e32 v57, 0x3bf1, v37
	v_add_f16_e32 v49, v49, v56
	v_fma_f16 v60, v70, 0x2fb7, -v53
	v_fmac_f16_e32 v53, 0x2fb7, v70
	v_mul_f16_e32 v56, 0x394e, v37
	v_add_f16_e32 v46, v46, v55
	v_fmamk_f16 v55, v35, 0x2fb7, v57
	v_fma_f16 v57, v35, 0x2fb7, -v57
	v_add_f16_e32 v53, v53, v62
	v_sub_f16_e32 v62, v58, v30
	v_fmamk_f16 v54, v35, 0xb9fd, v56
	v_fma_f16 v56, v35, 0xb9fd, -v56
	v_add_f16_e32 v55, v55, v66
	v_mul_f16_e32 v37, 0x3770, v37
	v_add_f16_e32 v57, v57, v64
	v_add_f16_e32 v64, v43, v31
	v_mul_f16_e32 v66, 0xbbf1, v62
	v_sub_f16_e32 v31, v43, v31
	v_add_f16_e32 v56, v56, v61
	v_add_f16_e32 v60, v60, v65
	v_mul_f16_e32 v61, 0x3770, v68
	v_fmamk_f16 v65, v35, 0x3b15, v37
	v_fma_f16 v35, v35, 0x3b15, -v37
	v_fma_f16 v37, v64, 0x2fb7, -v66
	v_add_f16_e32 v30, v58, v30
	v_mul_f16_e32 v43, 0xbbf1, v31
	v_add_f16_e32 v54, v54, v63
	v_fma_f16 v63, v70, 0x3b15, -v61
	v_fmac_f16_e32 v61, 0x3b15, v70
	v_add_f16_e32 v33, v35, v33
	v_add_f16_e32 v32, v37, v32
	v_mul_f16_e32 v35, 0xb3a8, v62
	v_fmamk_f16 v37, v30, 0x2fb7, v43
	v_fma_f16 v43, v30, 0x2fb7, -v43
	v_mul_f16_e32 v58, 0xb3a8, v31
	v_add_f16_e32 v38, v61, v38
	v_fma_f16 v61, v64, 0xbbc4, -v35
	v_add_f16_e32 v37, v37, v41
	v_add_f16_e32 v41, v43, v42
	v_fmamk_f16 v42, v30, 0xbbc4, v58
	v_fmac_f16_e32 v35, 0xbbc4, v64
	v_add_f16_e32 v43, v61, v47
	v_mul_f16_e32 v47, 0x3b7b, v62
	v_fma_f16 v58, v30, 0xbbc4, -v58
	v_add_f16_e32 v42, v42, v45
	v_mul_f16_e32 v45, 0x3b7b, v31
	v_add_f16_e32 v34, v35, v34
	v_fma_f16 v61, v64, 0xb5ac, -v47
	v_add_f16_e32 v35, v58, v40
	v_mul_f16_e32 v40, 0x3770, v62
	v_fmamk_f16 v58, v30, 0xb5ac, v45
	v_fmac_f16_e32 v71, 0x388b, v70
	v_add_f16_e32 v51, v61, v51
	v_fmac_f16_e32 v47, 0xb5ac, v64
	v_fma_f16 v45, v30, 0xb5ac, -v45
	v_fma_f16 v61, v64, 0x3b15, -v40
	v_add_f16_e32 v49, v58, v49
	v_mul_f16_e32 v58, 0x3770, v31
	v_add_f16_e32 v39, v71, v39
	v_fmac_f16_e32 v66, 0x2fb7, v64
	v_add_f16_e32 v47, v47, v48
	v_add_f16_e32 v45, v45, v50
	;; [unrolled: 1-line block ×3, first 2 shown]
	v_mul_f16_e32 v50, 0xba95, v62
	v_fmamk_f16 v52, v30, 0x3b15, v58
	v_fmac_f16_e32 v40, 0x3b15, v64
	v_mul_f16_e32 v61, 0xba95, v31
	v_fma_f16 v58, v30, 0x3b15, -v58
	v_add_f16_e32 v39, v66, v39
	v_fma_f16 v66, v64, 0x388b, -v50
	v_add_f16_e32 v52, v52, v54
	v_add_f16_e32 v40, v40, v46
	v_fmamk_f16 v46, v30, 0x388b, v61
	v_add_f16_e32 v54, v58, v56
	v_mul_f16_e32 v58, 0xb94e, v62
	v_add_f16_e32 v63, v63, v67
	v_add_f16_e32 v56, v66, v60
	v_fmac_f16_e32 v50, 0x388b, v64
	v_add_f16_e32 v46, v46, v55
	v_fma_f16 v55, v30, 0x388b, -v61
	v_fma_f16 v60, v64, 0xb9fd, -v58
	v_mul_f16_e32 v31, 0xb94e, v31
	v_add_f16_e32 v50, v50, v53
	v_sub_f16_e32 v53, v59, v29
	v_add_f16_e32 v55, v55, v57
	v_add_f16_e32 v57, v60, v63
	;; [unrolled: 1-line block ×3, first 2 shown]
	v_sub_f16_e32 v36, v44, v36
	v_fmamk_f16 v61, v30, 0xb9fd, v31
	v_mul_f16_e32 v62, 0xbb7b, v53
	v_fmac_f16_e32 v58, 0xb9fd, v64
	v_fma_f16 v30, v30, 0xb9fd, -v31
	v_add_f16_e32 v29, v59, v29
	v_mul_f16_e32 v44, 0xbb7b, v36
	v_fma_f16 v31, v60, 0xb5ac, -v62
	v_add_f16_e32 v38, v58, v38
	v_add_f16_e32 v30, v30, v33
	v_fmac_f16_e32 v62, 0xb5ac, v60
	v_fmamk_f16 v33, v29, 0xb5ac, v44
	v_fma_f16 v44, v29, 0xb5ac, -v44
	v_mul_f16_e32 v58, 0x394e, v36
	v_add_f16_e32 v31, v31, v32
	v_mul_f16_e32 v32, 0x394e, v53
	v_add_f16_e32 v33, v33, v37
	v_add_f16_e32 v37, v62, v39
	;; [unrolled: 1-line block ×3, first 2 shown]
	v_fmamk_f16 v41, v29, 0xb9fd, v58
	v_fma_f16 v59, v60, 0xb9fd, -v32
	v_mul_f16_e32 v44, 0x3770, v53
	v_fmac_f16_e32 v32, 0xb9fd, v60
	v_fma_f16 v58, v29, 0xb9fd, -v58
	v_add_f16_e32 v41, v41, v42
	v_mul_f16_e32 v42, 0x3770, v36
	v_add_f16_e32 v43, v59, v43
	v_fma_f16 v59, v60, 0x3b15, -v44
	v_add_f16_e32 v32, v32, v34
	v_add_f16_e32 v34, v58, v35
	v_mul_f16_e32 v35, 0xbbf1, v53
	v_fmamk_f16 v58, v29, 0x3b15, v42
	v_add_f16_e32 v51, v59, v51
	v_fmac_f16_e32 v44, 0x3b15, v60
	v_fma_f16 v42, v29, 0x3b15, -v42
	v_fma_f16 v59, v60, 0x2fb7, -v35
	v_add_f16_e32 v49, v58, v49
	v_mul_f16_e32 v58, 0xbbf1, v36
	v_add_f16_e32 v44, v44, v47
	v_add_f16_e32 v42, v42, v45
	;; [unrolled: 1-line block ×3, first 2 shown]
	v_mul_f16_e32 v47, 0x33a8, v53
	v_fmamk_f16 v48, v29, 0x2fb7, v58
	v_mul_f16_e32 v59, 0x33a8, v36
	v_add_f16_e32 v65, v65, v69
	v_fmac_f16_e32 v35, 0x2fb7, v60
	v_fma_f16 v58, v29, 0x2fb7, -v58
	v_fma_f16 v62, v60, 0xbbc4, -v47
	v_add_f16_e32 v48, v48, v52
	v_fmamk_f16 v52, v29, 0xbbc4, v59
	v_mul_f16_e32 v53, 0x3a95, v53
	v_mul_f16_e32 v36, 0x3a95, v36
	v_fmac_f16_e32 v47, 0xbbc4, v60
	v_add_f16_e32 v61, v61, v65
	v_add_f16_e32 v35, v35, v40
	v_add_f16_e32 v40, v58, v54
	v_add_f16_e32 v54, v62, v56
	v_add_f16_e32 v46, v52, v46
	v_fma_f16 v52, v29, 0xbbc4, -v59
	v_fma_f16 v56, v60, 0x388b, -v53
	v_fmamk_f16 v58, v29, 0x388b, v36
	v_add_f16_e32 v47, v47, v50
	v_sub_f16_e32 v50, v25, v27
	v_add_f16_e32 v52, v52, v55
	v_add_f16_e32 v55, v56, v57
	;; [unrolled: 1-line block ×4, first 2 shown]
	v_mul_f16_e32 v58, 0xb94e, v50
	v_sub_f16_e32 v26, v26, v28
	v_fma_f16 v28, v29, 0x388b, -v36
	v_fmac_f16_e32 v53, 0x388b, v60
	v_add_f16_e32 v25, v25, v27
	v_fma_f16 v27, v57, 0xb9fd, -v58
	v_mul_f16_e32 v29, 0xb94e, v26
	v_add_f16_e32 v28, v28, v30
	v_mul_f16_e32 v30, 0x3bf1, v50
	v_add_f16_e32 v36, v53, v38
	v_add_f16_e32 v27, v27, v31
	v_fmamk_f16 v31, v25, 0xb9fd, v29
	v_fmac_f16_e32 v58, 0xb9fd, v57
	v_fma_f16 v29, v25, 0xb9fd, -v29
	v_fma_f16 v38, v57, 0x2fb7, -v30
	v_mul_f16_e32 v53, 0x3bf1, v26
	v_add_f16_e32 v31, v31, v33
	v_add_f16_e32 v33, v58, v37
	;; [unrolled: 1-line block ×4, first 2 shown]
	v_fmamk_f16 v38, v25, 0x2fb7, v53
	v_mul_f16_e32 v39, 0xba95, v50
	v_fmac_f16_e32 v30, 0x2fb7, v57
	v_fma_f16 v43, v25, 0x2fb7, -v53
	v_mul_f16_e32 v53, 0xba95, v26
	v_add_f16_e32 v38, v38, v41
	v_fma_f16 v41, v57, 0x388b, -v39
	v_add_f16_e32 v30, v30, v32
	v_add_f16_e32 v32, v43, v34
	v_fmamk_f16 v34, v25, 0x388b, v53
	v_mul_f16_e32 v43, 0x33a8, v50
	v_add_f16_e32 v41, v41, v51
	v_fmac_f16_e32 v39, 0x388b, v57
	v_fma_f16 v51, v25, 0x388b, -v53
	v_add_f16_e32 v34, v34, v49
	v_fma_f16 v49, v57, 0xbbc4, -v43
	v_mul_f16_e32 v53, 0x33a8, v26
	v_add_f16_e32 v39, v39, v44
	v_add_f16_e32 v42, v51, v42
	v_mul_f16_e32 v44, 0x3770, v50
	v_add_f16_e32 v45, v49, v45
	v_fmamk_f16 v49, v25, 0xbbc4, v53
	v_fma_f16 v51, v25, 0xbbc4, -v53
	v_mul_f16_e32 v58, 0x3770, v26
	v_fmac_f16_e32 v43, 0xbbc4, v57
	v_fma_f16 v53, v57, 0x3b15, -v44
	v_add_f16_e32 v48, v49, v48
	v_add_f16_e32 v40, v51, v40
	v_fmamk_f16 v49, v25, 0x3b15, v58
	v_mul_f16_e32 v50, 0xbb7b, v50
	v_mul_f16_e32 v26, 0xbb7b, v26
	v_fmac_f16_e32 v44, 0x3b15, v57
	v_fma_f16 v51, v25, 0x3b15, -v58
	v_add_f16_e32 v35, v43, v35
	v_add_f16_e32 v43, v53, v54
	;; [unrolled: 1-line block ×3, first 2 shown]
	v_fma_f16 v49, v57, 0xb5ac, -v50
	v_fmamk_f16 v53, v25, 0xb5ac, v26
	v_add_f16_e32 v44, v44, v47
	v_add_f16_e32 v47, v51, v52
	v_sub_f16_e32 v51, v21, v23
	v_sub_f16_e32 v54, v22, v24
	v_add_f16_e32 v49, v49, v55
	v_add_f16_e32 v52, v53, v56
	;; [unrolled: 1-line block ×3, first 2 shown]
	v_mul_f16_e32 v22, 0xb3a8, v51
	v_fmac_f16_e32 v50, 0xb5ac, v57
	v_fma_f16 v24, v25, 0xb5ac, -v26
	v_add_f16_e32 v55, v21, v23
	v_mul_f16_e32 v21, 0xb3a8, v54
	v_fma_f16 v23, v53, 0xbbc4, -v22
	v_add_f16_e32 v36, v50, v36
	v_add_f16_e32 v50, v24, v28
	v_mul_f16_e32 v24, 0x3770, v51
	v_fmamk_f16 v25, v55, 0xbbc4, v21
	v_add_f16_e32 v56, v23, v27
	v_fmac_f16_e32 v22, 0xbbc4, v53
	v_mul_f16_e32 v26, 0xb94e, v51
	v_fma_f16 v23, v53, 0x3b15, -v24
	v_add_f16_e32 v31, v25, v31
	v_mul_f16_e32 v25, 0x3770, v54
	v_add_f16_e32 v22, v22, v33
	v_fmac_f16_e32 v24, 0x3b15, v53
	v_add_f16_e32 v33, v23, v37
	v_fma_f16 v28, v53, 0xb9fd, -v26
	v_fmamk_f16 v23, v55, 0x3b15, v25
	v_fma_f16 v25, v55, 0x3b15, -v25
	v_fma_f16 v21, v55, 0xbbc4, -v21
	v_mul_f16_e32 v27, 0xb94e, v54
	v_fmac_f16_e32 v26, 0xb9fd, v53
	v_add_f16_e32 v37, v23, v38
	v_add_f16_e32 v23, v24, v30
	;; [unrolled: 1-line block ×4, first 2 shown]
	v_mul_lo_u32 v41, v20, v19
	v_add_f16_e32 v21, v21, v29
	v_fmamk_f16 v29, v55, 0xb9fd, v27
	v_mul_f16_e32 v28, 0x3a95, v51
	v_fma_f16 v27, v55, 0xb9fd, -v27
	v_add_f16_e32 v25, v26, v39
	v_mul_lo_u32 v19, v19, 13
	v_add_f16_e32 v34, v29, v34
	v_fma_f16 v29, v53, 0x388b, -v28
	v_fmac_f16_e32 v28, 0x388b, v53
	v_add_f16_e32 v20, v27, v42
	v_lshrrev_b32_e32 v27, 4, v41
	v_lshrrev_b32_e32 v42, 10, v41
	v_mul_f16_e32 v30, 0x3a95, v54
	v_add_f16_e32 v26, v28, v35
	v_and_b32_e32 v35, 63, v41
	v_and_b32_e32 v27, 0xfc, v27
	;; [unrolled: 1-line block ×3, first 2 shown]
	v_add_nc_u32_e32 v41, v41, v19
	v_fmamk_f16 v38, v55, 0x388b, v30
	v_lshl_add_u32 v35, v35, 2, 0
	s_wait_alu 0xfffe
	v_add_nc_u32_e32 v27, s8, v27
	ds_load_b32 v35, v35 offset:8112
	ds_load_b32 v27, v27 offset:256
	v_add_nc_u32_e32 v42, s8, v42
	v_add_nc_u32_e32 v57, v41, v19
	v_add_f16_e32 v39, v29, v45
	v_lshrrev_b32_e32 v45, 4, v41
	v_add_f16_e32 v38, v38, v48
	v_lshrrev_b32_e32 v48, 10, v41
	ds_load_b32 v42, v42 offset:512
	v_lshrrev_b32_e32 v58, 4, v57
	v_and_b32_e32 v41, 63, v41
	v_and_b32_e32 v45, 0xfc, v45
	v_and_b32_e32 v48, 0xfc, v48
	v_and_b32_e32 v59, 63, v57
	v_and_b32_e32 v58, 0xfc, v58
	v_lshl_add_u32 v41, v41, 2, 0
	v_add_nc_u32_e32 v45, s8, v45
	v_fma_f16 v28, v55, 0x388b, -v30
	v_mul_f16_e32 v29, 0xbb7b, v51
	v_add_nc_u32_e32 v48, s8, v48
	s_wait_dscnt 0x2
	v_lshrrev_b32_e32 v60, 16, v35
	s_wait_dscnt 0x1
	v_lshrrev_b32_e32 v61, 16, v27
	v_lshl_add_u32 v59, v59, 2, 0
	v_add_nc_u32_e32 v58, s8, v58
	ds_load_b32 v41, v41 offset:8112
	ds_load_b32 v45, v45 offset:256
	;; [unrolled: 1-line block ×5, first 2 shown]
	v_fma_f16 v62, v53, 0xb5ac, -v29
	v_fmac_f16_e32 v29, 0xb5ac, v53
	v_add_f16_e32 v28, v28, v40
	v_mul_f16_e32 v40, v60, v61
	v_mul_f16_e32 v30, 0xbb7b, v54
	;; [unrolled: 1-line block ×3, first 2 shown]
	v_add_f16_e32 v29, v29, v44
	v_mul_f16_e32 v44, 0x3bf1, v51
	v_fma_f16 v40, v35, v27, -v40
	v_mul_f16_e32 v35, v35, v61
	s_wait_dscnt 0x5
	v_lshrrev_b32_e32 v51, 16, v42
	v_fmamk_f16 v63, v55, 0xb5ac, v30
	v_fma_f16 v30, v55, 0xb5ac, -v30
	v_fma_f16 v61, v53, 0x2fb7, -v44
	v_fmac_f16_e32 v35, v60, v27
	v_mul_f16_e32 v60, v40, v51
	v_fmamk_f16 v27, v55, 0x2fb7, v54
	v_add_f16_e32 v30, v30, v47
	v_add_f16_e32 v47, v61, v49
	v_mul_f16_e32 v49, v35, v51
	v_fmac_f16_e32 v60, v42, v35
	s_wait_dscnt 0x4
	v_lshrrev_b32_e32 v35, 16, v41
	s_wait_dscnt 0x3
	v_lshrrev_b32_e32 v51, 16, v45
	v_add_f16_e32 v52, v27, v52
	v_fma_f16 v40, v42, v40, -v49
	v_mul_f16_e32 v42, v0, v60
	v_fmac_f16_e32 v44, 0x2fb7, v53
	v_mul_f16_e32 v49, v35, v51
	v_fma_f16 v53, v55, 0x2fb7, -v54
	v_lshrrev_b32_e32 v54, 10, v57
	v_fma_f16 v27, v1, v40, -v42
	v_add_f16_e32 v36, v44, v36
	v_fma_f16 v42, v41, v45, -v49
	v_mul_f16_e32 v41, v41, v51
	s_wait_dscnt 0x2
	v_lshrrev_b32_e32 v49, 16, v48
	v_and_b32_e32 v54, 0xfc, v54
	v_add_f16_e32 v44, v53, v50
	s_wait_dscnt 0x1
	v_lshrrev_b32_e32 v50, 16, v59
	v_fmac_f16_e32 v41, v35, v45
	v_mul_f16_e32 v35, v42, v49
	v_add_nc_u32_e32 v45, v57, v19
	v_add_nc_u32_e32 v54, s8, v54
	s_wait_dscnt 0x0
	v_lshrrev_b32_e32 v51, 16, v58
	v_mul_f16_e32 v49, v41, v49
	v_fmac_f16_e32 v35, v48, v41
	v_lshrrev_b32_e32 v41, 4, v45
	v_and_b32_e32 v55, 63, v45
	v_lshrrev_b32_e32 v57, 10, v45
	v_add_nc_u32_e32 v45, v45, v19
	ds_load_b32 v54, v54 offset:512
	v_and_b32_e32 v41, 0xfc, v41
	v_lshl_add_u32 v55, v55, 2, 0
	v_mul_f16_e32 v53, v50, v51
	v_mul_f16_e32 v1, v1, v60
	v_lshrrev_b32_e32 v60, 4, v45
	v_add_nc_u32_e32 v41, s8, v41
	v_lshrrev_b32_e32 v61, 10, v45
	ds_load_b32 v55, v55 offset:8112
	ds_load_b32 v41, v41 offset:256
	v_fma_f16 v53, v59, v58, -v53
	v_mul_f16_e32 v51, v59, v51
	v_and_b32_e32 v59, 63, v45
	v_add_nc_u32_e32 v45, v45, v19
	v_and_b32_e32 v57, 0xfc, v57
	v_and_b32_e32 v60, 0xfc, v60
	;; [unrolled: 1-line block ×3, first 2 shown]
	v_add_f16_e32 v43, v62, v43
	v_and_b32_e32 v62, 63, v45
	v_add_nc_u32_e32 v57, s8, v57
	v_lshl_add_u32 v59, v59, 2, 0
	v_add_nc_u32_e32 v60, s8, v60
	v_add_nc_u32_e32 v61, s8, v61
	v_lshl_add_u32 v62, v62, 2, 0
	ds_load_b32 v57, v57 offset:512
	ds_load_b32 v59, v59 offset:8112
	;; [unrolled: 1-line block ×5, first 2 shown]
	v_add_f16_e32 v46, v63, v46
	s_wait_dscnt 0x7
	v_lshrrev_b32_e32 v63, 16, v54
	v_fma_f16 v42, v48, v42, -v49
	v_fmac_f16_e32 v1, v0, v40
	v_fmac_f16_e32 v51, v50, v58
	s_wait_dscnt 0x5
	v_lshrrev_b32_e32 v40, 16, v41
	v_mul_f16_e32 v0, v53, v63
	v_lshrrev_b32_e32 v49, 16, v55
	v_mul_f16_e32 v48, v31, v35
	v_mul_f16_e32 v50, v51, v63
	;; [unrolled: 1-line block ×3, first 2 shown]
	v_fmac_f16_e32 v0, v54, v51
	v_mul_f16_e32 v51, v55, v40
	v_mul_f16_e32 v40, v49, v40
	v_fma_f16 v50, v54, v53, -v50
	v_fma_f16 v48, v56, v42, -v48
	v_mul_f16_e32 v53, v37, v0
	v_fmac_f16_e32 v51, v49, v41
	s_wait_dscnt 0x4
	v_lshrrev_b32_e32 v49, 16, v57
	v_fma_f16 v40, v55, v41, -v40
	s_wait_dscnt 0x3
	v_lshrrev_b32_e32 v41, 16, v59
	s_wait_dscnt 0x2
	v_lshrrev_b32_e32 v54, 16, v60
	v_fmac_f16_e32 v35, v31, v42
	v_mul_f16_e32 v31, v51, v49
	v_mul_f16_e32 v42, v40, v49
	v_fma_f16 v49, v33, v50, -v53
	v_mul_f16_e32 v53, v41, v54
	v_mul_f16_e32 v0, v33, v0
	v_fma_f16 v31, v57, v40, -v31
	v_fmac_f16_e32 v42, v57, v51
	v_mul_f16_e32 v33, v59, v54
	v_fma_f16 v40, v59, v60, -v53
	s_wait_dscnt 0x1
	v_lshrrev_b32_e32 v51, 16, v61
	v_lshrrev_b32_e32 v53, 4, v45
	s_wait_dscnt 0x0
	v_lshrrev_b32_e32 v63, 16, v62
	v_fmac_f16_e32 v33, v41, v60
	v_lshrrev_b32_e32 v41, 10, v45
	v_mul_f16_e32 v55, v40, v51
	v_and_b32_e32 v53, 0xfc, v53
	v_add_nc_u32_e32 v45, v45, v19
	v_mul_f16_e32 v51, v33, v51
	v_and_b32_e32 v41, 0xfc, v41
	v_fmac_f16_e32 v55, v61, v33
	v_add_nc_u32_e32 v33, s8, v53
	v_lshrrev_b32_e32 v56, 4, v45
	v_and_b32_e32 v53, 63, v45
	v_add_nc_u32_e32 v41, s8, v41
	v_lshrrev_b32_e32 v57, 10, v45
	ds_load_b32 v33, v33 offset:256
	v_and_b32_e32 v56, 0xfc, v56
	v_add_nc_u32_e32 v45, v45, v19
	v_lshl_add_u32 v53, v53, 2, 0
	v_and_b32_e32 v57, 0xfc, v57
	v_mul_f16_e32 v54, v34, v42
	v_add_nc_u32_e32 v56, s8, v56
	v_lshrrev_b32_e32 v59, 4, v45
	ds_load_b32 v41, v41 offset:512
	ds_load_b32 v53, v53 offset:8112
	;; [unrolled: 1-line block ×3, first 2 shown]
	v_lshrrev_b32_e32 v60, 10, v45
	v_and_b32_e32 v58, 63, v45
	v_and_b32_e32 v59, 0xfc, v59
	v_add_nc_u32_e32 v57, s8, v57
	v_mul_f16_e32 v42, v32, v42
	v_and_b32_e32 v60, 0xfc, v60
	v_lshl_add_u32 v58, v58, 2, 0
	v_add_nc_u32_e32 v59, s8, v59
	v_fma_f16 v40, v61, v40, -v51
	v_mul_f16_e32 v51, v38, v55
	s_wait_dscnt 0x3
	v_lshrrev_b32_e32 v64, 16, v33
	v_add_nc_u32_e32 v60, s8, v60
	ds_load_b32 v57, v57 offset:512
	ds_load_b32 v58, v58 offset:8112
	;; [unrolled: 1-line block ×4, first 2 shown]
	v_fmac_f16_e32 v0, v37, v50
	v_mul_f16_e32 v37, v63, v64
	v_fma_f16 v32, v32, v31, -v54
	v_fmac_f16_e32 v42, v34, v31
	v_fma_f16 v31, v39, v40, -v51
	v_mul_f16_e32 v34, v62, v64
	v_fma_f16 v37, v62, v33, -v37
	s_wait_dscnt 0x6
	v_lshrrev_b32_e32 v50, 16, v41
	s_wait_dscnt 0x4
	v_lshrrev_b32_e32 v51, 16, v56
	v_mul_f16_e32 v39, v39, v55
	v_fmac_f16_e32 v34, v63, v33
	v_lshrrev_b32_e32 v33, 16, v53
	v_mul_f16_e32 v54, v37, v50
	v_mul_f16_e32 v55, v53, v51
	v_fmac_f16_e32 v39, v38, v40
	v_mul_f16_e32 v38, v34, v50
	v_mul_f16_e32 v40, v33, v51
	v_fmac_f16_e32 v54, v41, v34
	v_fmac_f16_e32 v55, v33, v56
	s_wait_dscnt 0x3
	v_lshrrev_b32_e32 v33, 16, v57
	v_fma_f16 v34, v41, v37, -v38
	v_fma_f16 v37, v53, v56, -v40
	v_mul_f16_e32 v38, v46, v54
	v_mul_f16_e32 v40, v43, v54
	;; [unrolled: 1-line block ×3, first 2 shown]
	v_add_nc_u32_e32 v45, v45, v19
	v_mul_f16_e32 v33, v37, v33
	v_fma_f16 v38, v43, v34, -v38
	v_fmac_f16_e32 v40, v46, v34
	v_fma_f16 v34, v57, v37, -v41
	v_lshrrev_b32_e32 v37, 4, v45
	v_and_b32_e32 v46, 63, v45
	v_lshrrev_b32_e32 v50, 10, v45
	v_add_nc_u32_e32 v45, v45, v19
	v_fmac_f16_e32 v33, v57, v55
	v_and_b32_e32 v37, 0xfc, v37
	v_lshl_add_u32 v46, v46, 2, 0
	v_and_b32_e32 v50, 0xfc, v50
	v_add_nc_u32_e32 v55, v45, v19
	v_lshrrev_b32_e32 v53, 4, v45
	v_add_nc_u32_e32 v37, s8, v37
	ds_load_b32 v46, v46 offset:8112
	ds_load_b32 v37, v37 offset:256
	v_add_nc_u32_e32 v50, s8, v50
	v_lshrrev_b32_e32 v54, 10, v45
	v_lshrrev_b32_e32 v56, 4, v55
	v_and_b32_e32 v45, 63, v45
	v_and_b32_e32 v53, 0xfc, v53
	ds_load_b32 v50, v50 offset:512
	v_and_b32_e32 v54, 0xfc, v54
	v_and_b32_e32 v57, 63, v55
	;; [unrolled: 1-line block ×3, first 2 shown]
	v_lshl_add_u32 v45, v45, 2, 0
	v_add_nc_u32_e32 v53, s8, v53
	s_wait_dscnt 0x5
	v_lshrrev_b32_e32 v41, 16, v58
	s_wait_dscnt 0x4
	v_lshrrev_b32_e32 v43, 16, v59
	v_add_nc_u32_e32 v54, s8, v54
	v_lshl_add_u32 v57, v57, 2, 0
	v_add_nc_u32_e32 v56, s8, v56
	ds_load_b32 v45, v45 offset:8112
	ds_load_b32 v53, v53 offset:256
	;; [unrolled: 1-line block ×5, first 2 shown]
	v_mul_f16_e32 v51, v41, v43
	s_wait_dscnt 0x7
	v_lshrrev_b32_e32 v61, 16, v46
	s_wait_dscnt 0x6
	v_lshrrev_b32_e32 v62, 16, v37
	v_mul_f16_e32 v63, v52, v33
	v_mul_f16_e32 v43, v58, v43
	v_fma_f16 v51, v58, v59, -v51
	v_lshrrev_b32_e32 v58, 16, v60
	v_mul_f16_e32 v64, v61, v62
	v_fma_f16 v63, v47, v34, -v63
	v_mul_f16_e32 v33, v47, v33
	v_fmac_f16_e32 v43, v41, v59
	s_wait_dscnt 0x5
	v_lshrrev_b32_e32 v59, 16, v50
	v_fma_f16 v47, v46, v37, -v64
	v_mul_f16_e32 v46, v46, v62
	v_mul_f16_e32 v41, v51, v58
	v_fmac_f16_e32 v33, v52, v34
	v_mul_f16_e32 v58, v43, v58
	v_mul_f16_e32 v34, v47, v59
	v_fmac_f16_e32 v46, v61, v37
	v_fmac_f16_e32 v41, v60, v43
	s_wait_dscnt 0x3
	v_lshrrev_b32_e32 v43, 16, v53
	v_fma_f16 v37, v60, v51, -v58
	v_pack_b32_f16 v1, v27, v1
	v_mul_f16_e32 v52, v46, v59
	v_fmac_f16_e32 v34, v50, v46
	v_lshrrev_b32_e32 v46, 16, v45
	v_mul_f16_e32 v51, v44, v41
	v_mul_f16_e32 v58, v45, v43
	;; [unrolled: 1-line block ×3, first 2 shown]
	v_fma_f16 v47, v50, v47, -v52
	v_mul_f16_e32 v50, v30, v34
	v_mul_f16_e32 v43, v46, v43
	v_fma_f16 v36, v36, v37, -v51
	v_fmac_f16_e32 v41, v44, v37
	v_fmac_f16_e32 v58, v46, v53
	s_wait_dscnt 0x2
	v_lshrrev_b32_e32 v46, 16, v54
	v_fma_f16 v37, v45, v53, -v43
	v_fma_f16 v43, v29, v47, -v50
	v_add_nc_u32_e32 v50, v55, v19
	v_lshrrev_b32_e32 v45, 10, v55
	v_mul_f16_e32 v44, v58, v46
	v_mul_f16_e32 v46, v37, v46
	s_wait_dscnt 0x1
	v_lshrrev_b32_e32 v51, 16, v57
	v_add_nc_u32_e32 v19, v50, v19
	v_and_b32_e32 v45, 0xfc, v45
	v_lshrrev_b32_e32 v55, 4, v50
	v_and_b32_e32 v53, 63, v50
	v_lshrrev_b32_e32 v50, 10, v50
	v_lshrrev_b32_e32 v59, 4, v19
	v_add_nc_u32_e32 v45, s8, v45
	v_and_b32_e32 v55, 0xfc, v55
	v_and_b32_e32 v60, 63, v19
	;; [unrolled: 1-line block ×4, first 2 shown]
	v_lshl_add_u32 v53, v53, 2, 0
	v_lshrrev_b32_e32 v19, 10, v19
	ds_load_b32 v45, v45 offset:512
	v_add_nc_u32_e32 v55, s8, v55
	v_add_nc_u32_e32 v50, s8, v50
	v_lshl_add_u32 v60, v60, 2, 0
	v_add_nc_u32_e32 v59, s8, v59
	v_and_b32_e32 v19, 0xfc, v19
	ds_load_b32 v53, v53 offset:8112
	ds_load_b32 v55, v55 offset:256
	;; [unrolled: 1-line block ×5, first 2 shown]
	s_wait_dscnt 0x6
	v_lshrrev_b32_e32 v52, 16, v56
	v_fmac_f16_e32 v46, v54, v58
	v_mul_f16_e32 v29, v29, v34
	v_add_nc_u32_e32 v19, s8, v19
	v_fma_f16 v34, v54, v37, -v44
	v_mul_f16_e32 v58, v51, v52
	v_mul_f16_e32 v52, v57, v52
	;; [unrolled: 1-line block ×3, first 2 shown]
	ds_load_b32 v19, v19 offset:512
	v_fmac_f16_e32 v29, v30, v47
	v_fma_f16 v44, v57, v56, -v58
	v_fmac_f16_e32 v52, v51, v56
	v_fma_f16 v30, v26, v34, -v37
	s_wait_dscnt 0x6
	v_lshrrev_b32_e32 v54, 16, v45
	v_mul_f16_e32 v26, v26, v46
	s_wait_dscnt 0x5
	v_lshrrev_b32_e32 v46, 16, v53
	s_wait_dscnt 0x4
	v_lshrrev_b32_e32 v47, 16, v55
	v_pack_b32_f16 v0, v49, v0
	v_mul_f16_e32 v37, v44, v54
	v_mul_f16_e32 v51, v52, v54
	s_wait_dscnt 0x2
	v_lshrrev_b32_e32 v54, 16, v60
	s_wait_dscnt 0x1
	v_lshrrev_b32_e32 v56, 16, v59
	v_fmac_f16_e32 v26, v28, v34
	v_fmac_f16_e32 v37, v45, v52
	v_mul_f16_e32 v52, v46, v47
	v_fma_f16 v28, v45, v44, -v51
	v_mul_f16_e32 v34, v54, v56
	v_mul_f16_e32 v47, v53, v47
	v_lshrrev_b32_e32 v51, 16, v50
	v_fma_f16 v45, v53, v55, -v52
	v_mul_f16_e32 v52, v60, v56
	v_fma_f16 v34, v60, v59, -v34
	s_wait_dscnt 0x0
	v_lshrrev_b32_e32 v53, 16, v19
	v_mul_f16_e32 v44, v20, v37
	v_fmac_f16_e32 v47, v46, v55
	v_fmac_f16_e32 v52, v54, v59
	v_mul_f16_e32 v46, v45, v51
	v_mul_f16_e32 v54, v34, v53
	v_fma_f16 v44, v25, v28, -v44
	v_mul_f16_e32 v25, v25, v37
	v_mul_f16_e32 v37, v52, v53
	;; [unrolled: 1-line block ×3, first 2 shown]
	v_fmac_f16_e32 v54, v19, v52
	v_fmac_f16_e32 v46, v50, v47
	;; [unrolled: 1-line block ×3, first 2 shown]
	v_fma_f16 v19, v19, v34, -v37
	v_fma_f16 v45, v50, v45, -v51
	v_mul_f16_e32 v34, v21, v54
	v_mul_f16_e32 v37, v22, v54
	;; [unrolled: 1-line block ×4, first 2 shown]
	global_wb scope:SCOPE_SE
	v_fma_f16 v22, v22, v19, -v34
	v_fmac_f16_e32 v37, v21, v19
	v_pack_b32_f16 v19, v48, v35
	v_pack_b32_f16 v21, v32, v42
	v_fma_f16 v20, v23, v45, -v47
	v_fmac_f16_e32 v46, v24, v45
	s_barrier_signal -1
	s_barrier_wait -1
	global_inv scope:SCOPE_SE
	ds_store_2addr_b32 v18, v1, v19 offset1:13
	ds_store_2addr_b32 v18, v0, v21 offset0:26 offset1:39
	v_pack_b32_f16 v0, v31, v39
	v_pack_b32_f16 v1, v38, v40
	v_pack_b32_f16 v19, v63, v33
	v_pack_b32_f16 v21, v36, v41
	v_pack_b32_f16 v23, v43, v29
	v_pack_b32_f16 v24, v30, v26
	v_pack_b32_f16 v25, v44, v25
	v_pack_b32_f16 v20, v20, v46
	v_pack_b32_f16 v22, v22, v37
	ds_store_2addr_b32 v18, v0, v1 offset0:52 offset1:65
	ds_store_2addr_b32 v18, v19, v21 offset0:78 offset1:91
	;; [unrolled: 1-line block ×4, first 2 shown]
	ds_store_b32 v18, v22 offset:624
	global_wb scope:SCOPE_SE
	s_wait_dscnt 0x0
	s_barrier_signal -1
	s_barrier_wait -1
	global_inv scope:SCOPE_SE
	s_and_saveexec_b32 s8, s26
	s_cbranch_execz .LBB0_19
; %bb.18:
	v_mad_co_u64_u32 v[0:1], null, s2, v15, 0
	v_mad_co_u64_u32 v[18:19], null, s0, v14, 0
	v_add3_u32 v27, 0, v17, v16
	v_mad_co_u64_u32 v[16:17], null, s0, v13, 0
	s_mul_u64 s[6:7], s[6:7], s[20:21]
	s_delay_alu instid0(VALU_DEP_4)
	v_mad_co_u64_u32 v[20:21], null, s3, v15, v[1:2]
	v_mad_co_u64_u32 v[21:22], null, s0, v12, 0
	s_wait_alu 0xfffe
	s_lshl_b64 s[2:3], s[6:7], 2
	ds_load_2addr_b32 v[25:26], v27 offset1:13
	s_lshl_b64 s[4:5], s[4:5], 2
	s_wait_alu 0xfffe
	s_add_nc_u64 s[2:3], s[14:15], s[2:3]
	v_mad_co_u64_u32 v[14:15], null, s1, v14, v[19:20]
	v_mov_b32_e32 v15, v17
	v_mov_b32_e32 v1, v20
	s_wait_alu 0xfffe
	s_add_nc_u64 s[2:3], s[2:3], s[4:5]
	v_mad_co_u64_u32 v[23:24], null, s0, v11, 0
	s_delay_alu instid0(VALU_DEP_4) | instskip(SKIP_3) | instid1(VALU_DEP_4)
	v_mov_b32_e32 v19, v14
	v_mad_co_u64_u32 v[13:14], null, s1, v13, v[15:16]
	v_mov_b32_e32 v14, v22
	v_lshlrev_b64_e32 v[0:1], 2, v[0:1]
	v_lshlrev_b64_e32 v[18:19], 2, v[18:19]
	s_delay_alu instid0(VALU_DEP_4) | instskip(SKIP_1) | instid1(VALU_DEP_3)
	v_mov_b32_e32 v17, v13
	s_wait_alu 0xfffe
	v_add_co_u32 v28, vcc_lo, s2, v0
	s_wait_alu 0xfffd
	v_add_co_ci_u32_e32 v29, vcc_lo, s3, v1, vcc_lo
	v_lshlrev_b64_e32 v[15:16], 2, v[16:17]
	s_delay_alu instid0(VALU_DEP_3) | instskip(SKIP_3) | instid1(VALU_DEP_4)
	v_add_co_u32 v0, vcc_lo, v28, v18
	v_mad_co_u64_u32 v[17:18], null, s0, v10, 0
	s_wait_alu 0xfffd
	v_add_co_ci_u32_e32 v1, vcc_lo, v29, v19, vcc_lo
	v_mad_co_u64_u32 v[12:13], null, s1, v12, v[14:15]
	v_add_co_u32 v14, vcc_lo, v28, v15
	s_wait_alu 0xfffd
	v_add_co_ci_u32_e32 v15, vcc_lo, v29, v16, vcc_lo
	s_wait_dscnt 0x0
	s_clause 0x1
	global_store_b32 v[0:1], v25, off
	global_store_b32 v[14:15], v26, off
	v_mov_b32_e32 v0, v18
	v_mov_b32_e32 v22, v12
	v_mad_co_u64_u32 v[15:16], null, s0, v8, 0
	s_delay_alu instid0(VALU_DEP_3) | instskip(NEXT) | instid1(VALU_DEP_2)
	v_mad_co_u64_u32 v[0:1], null, s1, v10, v[0:1]
	v_dual_mov_b32 v13, v24 :: v_dual_mov_b32 v10, v16
	s_delay_alu instid0(VALU_DEP_2) | instskip(NEXT) | instid1(VALU_DEP_2)
	v_mov_b32_e32 v18, v0
	v_mad_co_u64_u32 v[19:20], null, s1, v11, v[13:14]
	ds_load_2addr_b32 v[11:12], v27 offset0:26 offset1:39
	v_lshlrev_b64_e32 v[13:14], 2, v[21:22]
	v_mad_co_u64_u32 v[21:22], null, s0, v9, 0
	ds_load_2addr_b32 v[0:1], v27 offset0:52 offset1:65
	v_lshlrev_b64_e32 v[17:18], 2, v[17:18]
	v_mov_b32_e32 v24, v19
	v_add_co_u32 v13, vcc_lo, v28, v13
	s_wait_alu 0xfffd
	v_add_co_ci_u32_e32 v14, vcc_lo, v29, v14, vcc_lo
	s_delay_alu instid0(VALU_DEP_3) | instskip(SKIP_1) | instid1(VALU_DEP_2)
	v_lshlrev_b64_e32 v[19:20], 2, v[23:24]
	v_mov_b32_e32 v16, v22
	v_add_co_u32 v19, vcc_lo, v28, v19
	s_wait_alu 0xfffd
	s_delay_alu instid0(VALU_DEP_3)
	v_add_co_ci_u32_e32 v20, vcc_lo, v29, v20, vcc_lo
	s_wait_dscnt 0x1
	v_mad_co_u64_u32 v[22:23], null, s1, v8, v[10:11]
	v_mad_co_u64_u32 v[8:9], null, s1, v9, v[16:17]
	;; [unrolled: 1-line block ×3, first 2 shown]
	v_add_co_u32 v17, vcc_lo, v28, v17
	s_wait_alu 0xfffd
	v_add_co_ci_u32_e32 v18, vcc_lo, v29, v18, vcc_lo
	s_clause 0x1
	global_store_b32 v[13:14], v11, off
	global_store_b32 v[19:20], v12, off
	v_mov_b32_e32 v16, v22
	ds_load_2addr_b32 v[11:12], v27 offset0:78 offset1:91
	s_wait_dscnt 0x1
	global_store_b32 v[17:18], v0, off
	v_mov_b32_e32 v0, v10
	v_mov_b32_e32 v22, v8
	v_lshlrev_b64_e32 v[13:14], 2, v[15:16]
	v_mad_co_u64_u32 v[17:18], null, s0, v6, 0
	s_delay_alu instid0(VALU_DEP_4) | instskip(NEXT) | instid1(VALU_DEP_4)
	v_mad_co_u64_u32 v[7:8], null, s1, v7, v[0:1]
	v_lshlrev_b64_e32 v[15:16], 2, v[21:22]
	s_delay_alu instid0(VALU_DEP_4)
	v_add_co_u32 v13, vcc_lo, v28, v13
	s_wait_alu 0xfffd
	v_add_co_ci_u32_e32 v14, vcc_lo, v29, v14, vcc_lo
	v_mov_b32_e32 v0, v18
	v_mov_b32_e32 v10, v7
	v_mad_co_u64_u32 v[7:8], null, s0, v5, 0
	v_add_co_u32 v15, vcc_lo, v28, v15
	s_wait_alu 0xfffd
	v_add_co_ci_u32_e32 v16, vcc_lo, v29, v16, vcc_lo
	global_store_b32 v[13:14], v1, off
	s_wait_dscnt 0x0
	global_store_b32 v[15:16], v11, off
	v_lshlrev_b64_e32 v[9:10], 2, v[9:10]
	v_mad_co_u64_u32 v[0:1], null, s1, v6, v[0:1]
	v_mad_co_u64_u32 v[13:14], null, s0, v4, 0
	v_mov_b32_e32 v1, v8
	s_delay_alu instid0(VALU_DEP_4) | instskip(SKIP_2) | instid1(VALU_DEP_3)
	v_add_co_u32 v8, vcc_lo, v28, v9
	s_wait_alu 0xfffd
	v_add_co_ci_u32_e32 v9, vcc_lo, v29, v10, vcc_lo
	v_mad_co_u64_u32 v[5:6], null, s1, v5, v[1:2]
	v_mov_b32_e32 v1, v14
	v_mad_co_u64_u32 v[10:11], null, s0, v3, 0
	v_mov_b32_e32 v18, v0
	global_store_b32 v[8:9], v12, off
	v_mad_co_u64_u32 v[0:1], null, s1, v4, v[1:2]
	v_mov_b32_e32 v8, v5
	v_mad_co_u64_u32 v[4:5], null, s0, v2, 0
	v_mov_b32_e32 v1, v11
	v_lshlrev_b64_e32 v[17:18], 2, v[17:18]
	ds_load_2addr_b32 v[15:16], v27 offset0:104 offset1:117
	v_mov_b32_e32 v14, v0
	v_mad_co_u64_u32 v[0:1], null, s1, v3, v[1:2]
	v_mov_b32_e32 v1, v5
	v_lshlrev_b64_e32 v[5:6], 2, v[7:8]
	v_add_co_u32 v17, vcc_lo, v28, v17
	s_wait_alu 0xfffd
	v_add_co_ci_u32_e32 v18, vcc_lo, v29, v18, vcc_lo
	v_mov_b32_e32 v11, v0
	v_mad_co_u64_u32 v[1:2], null, s1, v2, v[1:2]
	ds_load_2addr_b32 v[7:8], v27 offset0:130 offset1:143
	v_add_co_u32 v2, vcc_lo, v28, v5
	s_wait_alu 0xfffd
	v_add_co_ci_u32_e32 v3, vcc_lo, v29, v6, vcc_lo
	ds_load_b32 v6, v27 offset:624
	v_lshlrev_b64_e32 v[12:13], 2, v[13:14]
	v_mov_b32_e32 v5, v1
	v_lshlrev_b64_e32 v[9:10], 2, v[10:11]
	s_delay_alu instid0(VALU_DEP_3) | instskip(NEXT) | instid1(VALU_DEP_3)
	v_add_co_u32 v0, vcc_lo, v28, v12
	v_lshlrev_b64_e32 v[4:5], 2, v[4:5]
	s_wait_alu 0xfffd
	v_add_co_ci_u32_e32 v1, vcc_lo, v29, v13, vcc_lo
	s_delay_alu instid0(VALU_DEP_4)
	v_add_co_u32 v9, vcc_lo, v28, v9
	s_wait_alu 0xfffd
	v_add_co_ci_u32_e32 v10, vcc_lo, v29, v10, vcc_lo
	v_add_co_u32 v4, vcc_lo, v28, v4
	s_wait_alu 0xfffd
	v_add_co_ci_u32_e32 v5, vcc_lo, v29, v5, vcc_lo
	s_wait_dscnt 0x2
	s_clause 0x1
	global_store_b32 v[17:18], v15, off
	global_store_b32 v[2:3], v16, off
	s_wait_dscnt 0x1
	s_clause 0x1
	global_store_b32 v[0:1], v7, off
	global_store_b32 v[9:10], v8, off
	s_wait_dscnt 0x0
	global_store_b32 v[4:5], v6, off
.LBB0_19:
	s_nop 0
	s_sendmsg sendmsg(MSG_DEALLOC_VGPRS)
	s_endpgm
	.section	.rodata,"a",@progbits
	.p2align	6, 0x0
	.amdhsa_kernel fft_rtc_fwd_len169_factors_13_13_wgs_156_tpt_13_half_op_CI_CI_sbcc_twdbase6_3step
		.amdhsa_group_segment_fixed_size 0
		.amdhsa_private_segment_fixed_size 0
		.amdhsa_kernarg_size 112
		.amdhsa_user_sgpr_count 2
		.amdhsa_user_sgpr_dispatch_ptr 0
		.amdhsa_user_sgpr_queue_ptr 0
		.amdhsa_user_sgpr_kernarg_segment_ptr 1
		.amdhsa_user_sgpr_dispatch_id 0
		.amdhsa_user_sgpr_private_segment_size 0
		.amdhsa_wavefront_size32 1
		.amdhsa_uses_dynamic_stack 0
		.amdhsa_enable_private_segment 0
		.amdhsa_system_sgpr_workgroup_id_x 1
		.amdhsa_system_sgpr_workgroup_id_y 0
		.amdhsa_system_sgpr_workgroup_id_z 0
		.amdhsa_system_sgpr_workgroup_info 0
		.amdhsa_system_vgpr_workitem_id 0
		.amdhsa_next_free_vgpr 74
		.amdhsa_next_free_sgpr 61
		.amdhsa_reserve_vcc 1
		.amdhsa_float_round_mode_32 0
		.amdhsa_float_round_mode_16_64 0
		.amdhsa_float_denorm_mode_32 3
		.amdhsa_float_denorm_mode_16_64 3
		.amdhsa_fp16_overflow 0
		.amdhsa_workgroup_processor_mode 1
		.amdhsa_memory_ordered 1
		.amdhsa_forward_progress 0
		.amdhsa_round_robin_scheduling 0
		.amdhsa_exception_fp_ieee_invalid_op 0
		.amdhsa_exception_fp_denorm_src 0
		.amdhsa_exception_fp_ieee_div_zero 0
		.amdhsa_exception_fp_ieee_overflow 0
		.amdhsa_exception_fp_ieee_underflow 0
		.amdhsa_exception_fp_ieee_inexact 0
		.amdhsa_exception_int_div_zero 0
	.end_amdhsa_kernel
	.text
.Lfunc_end0:
	.size	fft_rtc_fwd_len169_factors_13_13_wgs_156_tpt_13_half_op_CI_CI_sbcc_twdbase6_3step, .Lfunc_end0-fft_rtc_fwd_len169_factors_13_13_wgs_156_tpt_13_half_op_CI_CI_sbcc_twdbase6_3step
                                        ; -- End function
	.section	.AMDGPU.csdata,"",@progbits
; Kernel info:
; codeLenInByte = 13052
; NumSgprs: 63
; NumVgprs: 74
; ScratchSize: 0
; MemoryBound: 0
; FloatMode: 240
; IeeeMode: 1
; LDSByteSize: 0 bytes/workgroup (compile time only)
; SGPRBlocks: 7
; VGPRBlocks: 9
; NumSGPRsForWavesPerEU: 63
; NumVGPRsForWavesPerEU: 74
; Occupancy: 15
; WaveLimiterHint : 1
; COMPUTE_PGM_RSRC2:SCRATCH_EN: 0
; COMPUTE_PGM_RSRC2:USER_SGPR: 2
; COMPUTE_PGM_RSRC2:TRAP_HANDLER: 0
; COMPUTE_PGM_RSRC2:TGID_X_EN: 1
; COMPUTE_PGM_RSRC2:TGID_Y_EN: 0
; COMPUTE_PGM_RSRC2:TGID_Z_EN: 0
; COMPUTE_PGM_RSRC2:TIDIG_COMP_CNT: 0
	.text
	.p2alignl 7, 3214868480
	.fill 96, 4, 3214868480
	.type	__hip_cuid_e80ca9d58bd8dff8,@object ; @__hip_cuid_e80ca9d58bd8dff8
	.section	.bss,"aw",@nobits
	.globl	__hip_cuid_e80ca9d58bd8dff8
__hip_cuid_e80ca9d58bd8dff8:
	.byte	0                               ; 0x0
	.size	__hip_cuid_e80ca9d58bd8dff8, 1

	.ident	"AMD clang version 19.0.0git (https://github.com/RadeonOpenCompute/llvm-project roc-6.4.0 25133 c7fe45cf4b819c5991fe208aaa96edf142730f1d)"
	.section	".note.GNU-stack","",@progbits
	.addrsig
	.addrsig_sym __hip_cuid_e80ca9d58bd8dff8
	.amdgpu_metadata
---
amdhsa.kernels:
  - .args:
      - .actual_access:  read_only
        .address_space:  global
        .offset:         0
        .size:           8
        .value_kind:     global_buffer
      - .address_space:  global
        .offset:         8
        .size:           8
        .value_kind:     global_buffer
      - .offset:         16
        .size:           8
        .value_kind:     by_value
      - .actual_access:  read_only
        .address_space:  global
        .offset:         24
        .size:           8
        .value_kind:     global_buffer
      - .actual_access:  read_only
        .address_space:  global
        .offset:         32
        .size:           8
        .value_kind:     global_buffer
      - .actual_access:  read_only
        .address_space:  global
        .offset:         40
        .size:           8
        .value_kind:     global_buffer
      - .offset:         48
        .size:           8
        .value_kind:     by_value
      - .actual_access:  read_only
        .address_space:  global
        .offset:         56
        .size:           8
        .value_kind:     global_buffer
      - .actual_access:  read_only
        .address_space:  global
        .offset:         64
        .size:           8
        .value_kind:     global_buffer
      - .offset:         72
        .size:           4
        .value_kind:     by_value
      - .actual_access:  read_only
        .address_space:  global
        .offset:         80
        .size:           8
        .value_kind:     global_buffer
      - .actual_access:  read_only
        .address_space:  global
        .offset:         88
        .size:           8
        .value_kind:     global_buffer
      - .actual_access:  read_only
        .address_space:  global
        .offset:         96
        .size:           8
        .value_kind:     global_buffer
      - .actual_access:  write_only
        .address_space:  global
        .offset:         104
        .size:           8
        .value_kind:     global_buffer
    .group_segment_fixed_size: 0
    .kernarg_segment_align: 8
    .kernarg_segment_size: 112
    .language:       OpenCL C
    .language_version:
      - 2
      - 0
    .max_flat_workgroup_size: 156
    .name:           fft_rtc_fwd_len169_factors_13_13_wgs_156_tpt_13_half_op_CI_CI_sbcc_twdbase6_3step
    .private_segment_fixed_size: 0
    .sgpr_count:     63
    .sgpr_spill_count: 0
    .symbol:         fft_rtc_fwd_len169_factors_13_13_wgs_156_tpt_13_half_op_CI_CI_sbcc_twdbase6_3step.kd
    .uniform_work_group_size: 1
    .uses_dynamic_stack: false
    .vgpr_count:     74
    .vgpr_spill_count: 0
    .wavefront_size: 32
    .workgroup_processor_mode: 1
amdhsa.target:   amdgcn-amd-amdhsa--gfx1201
amdhsa.version:
  - 1
  - 2
...

	.end_amdgpu_metadata
